;; amdgpu-corpus repo=ROCm/rocFFT kind=compiled arch=gfx1201 opt=O3
	.text
	.amdgcn_target "amdgcn-amd-amdhsa--gfx1201"
	.amdhsa_code_object_version 6
	.protected	fft_rtc_fwd_len1352_factors_2_13_13_4_wgs_52_tpt_52_halfLds_sp_ip_CI_sbrr_dirReg ; -- Begin function fft_rtc_fwd_len1352_factors_2_13_13_4_wgs_52_tpt_52_halfLds_sp_ip_CI_sbrr_dirReg
	.globl	fft_rtc_fwd_len1352_factors_2_13_13_4_wgs_52_tpt_52_halfLds_sp_ip_CI_sbrr_dirReg
	.p2align	8
	.type	fft_rtc_fwd_len1352_factors_2_13_13_4_wgs_52_tpt_52_halfLds_sp_ip_CI_sbrr_dirReg,@function
fft_rtc_fwd_len1352_factors_2_13_13_4_wgs_52_tpt_52_halfLds_sp_ip_CI_sbrr_dirReg: ; @fft_rtc_fwd_len1352_factors_2_13_13_4_wgs_52_tpt_52_halfLds_sp_ip_CI_sbrr_dirReg
; %bb.0:
	s_clause 0x2
	s_load_b64 s[12:13], s[0:1], 0x18
	s_load_b128 s[4:7], s[0:1], 0x0
	s_load_b64 s[10:11], s[0:1], 0x50
	v_mul_u32_u24_e32 v1, 0x4ed, v0
	v_mov_b32_e32 v3, 0
	s_delay_alu instid0(VALU_DEP_2) | instskip(NEXT) | instid1(VALU_DEP_1)
	v_lshrrev_b32_e32 v1, 16, v1
	v_add_nc_u32_e32 v5, ttmp9, v1
	v_mov_b32_e32 v1, 0
	v_mov_b32_e32 v2, 0
	;; [unrolled: 1-line block ×3, first 2 shown]
	s_wait_kmcnt 0x0
	s_load_b64 s[8:9], s[12:13], 0x0
	v_cmp_lt_u64_e64 s2, s[6:7], 2
	s_delay_alu instid0(VALU_DEP_1)
	s_and_b32 vcc_lo, exec_lo, s2
	s_cbranch_vccnz .LBB0_8
; %bb.1:
	s_load_b64 s[2:3], s[0:1], 0x10
	v_mov_b32_e32 v1, 0
	v_mov_b32_e32 v2, 0
	s_add_nc_u64 s[14:15], s[12:13], 8
	s_mov_b64 s[16:17], 1
	s_wait_kmcnt 0x0
	s_add_nc_u64 s[18:19], s[2:3], 8
	s_mov_b32 s3, 0
.LBB0_2:                                ; =>This Inner Loop Header: Depth=1
	s_load_b64 s[20:21], s[18:19], 0x0
                                        ; implicit-def: $vgpr7_vgpr8
	s_mov_b32 s2, exec_lo
	s_wait_kmcnt 0x0
	v_or_b32_e32 v4, s21, v6
	s_delay_alu instid0(VALU_DEP_1)
	v_cmpx_ne_u64_e32 0, v[3:4]
	s_wait_alu 0xfffe
	s_xor_b32 s22, exec_lo, s2
	s_cbranch_execz .LBB0_4
; %bb.3:                                ;   in Loop: Header=BB0_2 Depth=1
	s_cvt_f32_u32 s2, s20
	s_cvt_f32_u32 s23, s21
	s_sub_nc_u64 s[26:27], 0, s[20:21]
	s_wait_alu 0xfffe
	s_delay_alu instid0(SALU_CYCLE_1) | instskip(SKIP_1) | instid1(SALU_CYCLE_2)
	s_fmamk_f32 s2, s23, 0x4f800000, s2
	s_wait_alu 0xfffe
	v_s_rcp_f32 s2, s2
	s_delay_alu instid0(TRANS32_DEP_1) | instskip(SKIP_1) | instid1(SALU_CYCLE_2)
	s_mul_f32 s2, s2, 0x5f7ffffc
	s_wait_alu 0xfffe
	s_mul_f32 s23, s2, 0x2f800000
	s_wait_alu 0xfffe
	s_delay_alu instid0(SALU_CYCLE_2) | instskip(SKIP_1) | instid1(SALU_CYCLE_2)
	s_trunc_f32 s23, s23
	s_wait_alu 0xfffe
	s_fmamk_f32 s2, s23, 0xcf800000, s2
	s_cvt_u32_f32 s25, s23
	s_wait_alu 0xfffe
	s_delay_alu instid0(SALU_CYCLE_1) | instskip(SKIP_1) | instid1(SALU_CYCLE_2)
	s_cvt_u32_f32 s24, s2
	s_wait_alu 0xfffe
	s_mul_u64 s[28:29], s[26:27], s[24:25]
	s_wait_alu 0xfffe
	s_mul_hi_u32 s31, s24, s29
	s_mul_i32 s30, s24, s29
	s_mul_hi_u32 s2, s24, s28
	s_mul_i32 s33, s25, s28
	s_wait_alu 0xfffe
	s_add_nc_u64 s[30:31], s[2:3], s[30:31]
	s_mul_hi_u32 s23, s25, s28
	s_mul_hi_u32 s34, s25, s29
	s_add_co_u32 s2, s30, s33
	s_wait_alu 0xfffe
	s_add_co_ci_u32 s2, s31, s23
	s_mul_i32 s28, s25, s29
	s_add_co_ci_u32 s29, s34, 0
	s_wait_alu 0xfffe
	s_add_nc_u64 s[28:29], s[2:3], s[28:29]
	s_wait_alu 0xfffe
	v_add_co_u32 v4, s2, s24, s28
	s_delay_alu instid0(VALU_DEP_1) | instskip(SKIP_1) | instid1(VALU_DEP_1)
	s_cmp_lg_u32 s2, 0
	s_add_co_ci_u32 s25, s25, s29
	v_readfirstlane_b32 s24, v4
	s_wait_alu 0xfffe
	s_delay_alu instid0(VALU_DEP_1)
	s_mul_u64 s[26:27], s[26:27], s[24:25]
	s_wait_alu 0xfffe
	s_mul_hi_u32 s29, s24, s27
	s_mul_i32 s28, s24, s27
	s_mul_hi_u32 s2, s24, s26
	s_mul_i32 s30, s25, s26
	s_wait_alu 0xfffe
	s_add_nc_u64 s[28:29], s[2:3], s[28:29]
	s_mul_hi_u32 s23, s25, s26
	s_mul_hi_u32 s24, s25, s27
	s_wait_alu 0xfffe
	s_add_co_u32 s2, s28, s30
	s_add_co_ci_u32 s2, s29, s23
	s_mul_i32 s26, s25, s27
	s_add_co_ci_u32 s27, s24, 0
	s_wait_alu 0xfffe
	s_add_nc_u64 s[26:27], s[2:3], s[26:27]
	s_wait_alu 0xfffe
	v_add_co_u32 v4, s2, v4, s26
	s_delay_alu instid0(VALU_DEP_1) | instskip(SKIP_1) | instid1(VALU_DEP_1)
	s_cmp_lg_u32 s2, 0
	s_add_co_ci_u32 s2, s25, s27
	v_mul_hi_u32 v13, v5, v4
	s_wait_alu 0xfffe
	v_mad_co_u64_u32 v[7:8], null, v5, s2, 0
	v_mad_co_u64_u32 v[9:10], null, v6, v4, 0
	;; [unrolled: 1-line block ×3, first 2 shown]
	s_delay_alu instid0(VALU_DEP_3) | instskip(SKIP_1) | instid1(VALU_DEP_4)
	v_add_co_u32 v4, vcc_lo, v13, v7
	s_wait_alu 0xfffd
	v_add_co_ci_u32_e32 v7, vcc_lo, 0, v8, vcc_lo
	s_delay_alu instid0(VALU_DEP_2) | instskip(SKIP_1) | instid1(VALU_DEP_2)
	v_add_co_u32 v4, vcc_lo, v4, v9
	s_wait_alu 0xfffd
	v_add_co_ci_u32_e32 v4, vcc_lo, v7, v10, vcc_lo
	s_wait_alu 0xfffd
	v_add_co_ci_u32_e32 v7, vcc_lo, 0, v12, vcc_lo
	s_delay_alu instid0(VALU_DEP_2) | instskip(SKIP_1) | instid1(VALU_DEP_2)
	v_add_co_u32 v4, vcc_lo, v4, v11
	s_wait_alu 0xfffd
	v_add_co_ci_u32_e32 v9, vcc_lo, 0, v7, vcc_lo
	s_delay_alu instid0(VALU_DEP_2) | instskip(SKIP_1) | instid1(VALU_DEP_3)
	v_mul_lo_u32 v10, s21, v4
	v_mad_co_u64_u32 v[7:8], null, s20, v4, 0
	v_mul_lo_u32 v11, s20, v9
	s_delay_alu instid0(VALU_DEP_2) | instskip(NEXT) | instid1(VALU_DEP_2)
	v_sub_co_u32 v7, vcc_lo, v5, v7
	v_add3_u32 v8, v8, v11, v10
	s_delay_alu instid0(VALU_DEP_1) | instskip(SKIP_1) | instid1(VALU_DEP_1)
	v_sub_nc_u32_e32 v10, v6, v8
	s_wait_alu 0xfffd
	v_subrev_co_ci_u32_e64 v10, s2, s21, v10, vcc_lo
	v_add_co_u32 v11, s2, v4, 2
	s_wait_alu 0xf1ff
	v_add_co_ci_u32_e64 v12, s2, 0, v9, s2
	v_sub_co_u32 v13, s2, v7, s20
	v_sub_co_ci_u32_e32 v8, vcc_lo, v6, v8, vcc_lo
	s_wait_alu 0xf1ff
	v_subrev_co_ci_u32_e64 v10, s2, 0, v10, s2
	s_delay_alu instid0(VALU_DEP_3) | instskip(NEXT) | instid1(VALU_DEP_3)
	v_cmp_le_u32_e32 vcc_lo, s20, v13
	v_cmp_eq_u32_e64 s2, s21, v8
	s_wait_alu 0xfffd
	v_cndmask_b32_e64 v13, 0, -1, vcc_lo
	v_cmp_le_u32_e32 vcc_lo, s21, v10
	s_wait_alu 0xfffd
	v_cndmask_b32_e64 v14, 0, -1, vcc_lo
	v_cmp_le_u32_e32 vcc_lo, s20, v7
	;; [unrolled: 3-line block ×3, first 2 shown]
	s_wait_alu 0xfffd
	v_cndmask_b32_e64 v15, 0, -1, vcc_lo
	v_cmp_eq_u32_e32 vcc_lo, s21, v10
	s_wait_alu 0xf1ff
	s_delay_alu instid0(VALU_DEP_2)
	v_cndmask_b32_e64 v7, v15, v7, s2
	s_wait_alu 0xfffd
	v_cndmask_b32_e32 v10, v14, v13, vcc_lo
	v_add_co_u32 v13, vcc_lo, v4, 1
	s_wait_alu 0xfffd
	v_add_co_ci_u32_e32 v14, vcc_lo, 0, v9, vcc_lo
	s_delay_alu instid0(VALU_DEP_3) | instskip(SKIP_2) | instid1(VALU_DEP_3)
	v_cmp_ne_u32_e32 vcc_lo, 0, v10
	s_wait_alu 0xfffd
	v_cndmask_b32_e32 v10, v13, v11, vcc_lo
	v_cndmask_b32_e32 v8, v14, v12, vcc_lo
	v_cmp_ne_u32_e32 vcc_lo, 0, v7
	s_wait_alu 0xfffd
	s_delay_alu instid0(VALU_DEP_2)
	v_dual_cndmask_b32 v7, v4, v10 :: v_dual_cndmask_b32 v8, v9, v8
.LBB0_4:                                ;   in Loop: Header=BB0_2 Depth=1
	s_wait_alu 0xfffe
	s_and_not1_saveexec_b32 s2, s22
	s_cbranch_execz .LBB0_6
; %bb.5:                                ;   in Loop: Header=BB0_2 Depth=1
	v_cvt_f32_u32_e32 v4, s20
	s_sub_co_i32 s22, 0, s20
	s_delay_alu instid0(VALU_DEP_1) | instskip(NEXT) | instid1(TRANS32_DEP_1)
	v_rcp_iflag_f32_e32 v4, v4
	v_mul_f32_e32 v4, 0x4f7ffffe, v4
	s_delay_alu instid0(VALU_DEP_1) | instskip(SKIP_1) | instid1(VALU_DEP_1)
	v_cvt_u32_f32_e32 v4, v4
	s_wait_alu 0xfffe
	v_mul_lo_u32 v7, s22, v4
	s_delay_alu instid0(VALU_DEP_1) | instskip(NEXT) | instid1(VALU_DEP_1)
	v_mul_hi_u32 v7, v4, v7
	v_add_nc_u32_e32 v4, v4, v7
	s_delay_alu instid0(VALU_DEP_1) | instskip(NEXT) | instid1(VALU_DEP_1)
	v_mul_hi_u32 v4, v5, v4
	v_mul_lo_u32 v7, v4, s20
	v_add_nc_u32_e32 v8, 1, v4
	s_delay_alu instid0(VALU_DEP_2) | instskip(NEXT) | instid1(VALU_DEP_1)
	v_sub_nc_u32_e32 v7, v5, v7
	v_subrev_nc_u32_e32 v9, s20, v7
	v_cmp_le_u32_e32 vcc_lo, s20, v7
	s_wait_alu 0xfffd
	s_delay_alu instid0(VALU_DEP_2) | instskip(NEXT) | instid1(VALU_DEP_1)
	v_dual_cndmask_b32 v7, v7, v9 :: v_dual_cndmask_b32 v4, v4, v8
	v_cmp_le_u32_e32 vcc_lo, s20, v7
	s_delay_alu instid0(VALU_DEP_2) | instskip(SKIP_1) | instid1(VALU_DEP_1)
	v_add_nc_u32_e32 v8, 1, v4
	s_wait_alu 0xfffd
	v_dual_cndmask_b32 v7, v4, v8 :: v_dual_mov_b32 v8, v3
.LBB0_6:                                ;   in Loop: Header=BB0_2 Depth=1
	s_wait_alu 0xfffe
	s_or_b32 exec_lo, exec_lo, s2
	s_load_b64 s[22:23], s[14:15], 0x0
	s_delay_alu instid0(VALU_DEP_1)
	v_mul_lo_u32 v4, v8, s20
	v_mul_lo_u32 v11, v7, s21
	v_mad_co_u64_u32 v[9:10], null, v7, s20, 0
	s_add_nc_u64 s[16:17], s[16:17], 1
	s_add_nc_u64 s[14:15], s[14:15], 8
	s_wait_alu 0xfffe
	v_cmp_ge_u64_e64 s2, s[16:17], s[6:7]
	s_add_nc_u64 s[18:19], s[18:19], 8
	s_delay_alu instid0(VALU_DEP_2) | instskip(NEXT) | instid1(VALU_DEP_3)
	v_add3_u32 v4, v10, v11, v4
	v_sub_co_u32 v5, vcc_lo, v5, v9
	s_wait_alu 0xfffd
	s_delay_alu instid0(VALU_DEP_2) | instskip(SKIP_3) | instid1(VALU_DEP_2)
	v_sub_co_ci_u32_e32 v4, vcc_lo, v6, v4, vcc_lo
	s_and_b32 vcc_lo, exec_lo, s2
	s_wait_kmcnt 0x0
	v_mul_lo_u32 v6, s23, v5
	v_mul_lo_u32 v4, s22, v4
	v_mad_co_u64_u32 v[1:2], null, s22, v5, v[1:2]
	s_delay_alu instid0(VALU_DEP_1)
	v_add3_u32 v2, v6, v2, v4
	s_wait_alu 0xfffe
	s_cbranch_vccnz .LBB0_9
; %bb.7:                                ;   in Loop: Header=BB0_2 Depth=1
	v_dual_mov_b32 v5, v7 :: v_dual_mov_b32 v6, v8
	s_branch .LBB0_2
.LBB0_8:
	v_dual_mov_b32 v8, v6 :: v_dual_mov_b32 v7, v5
.LBB0_9:
	s_lshl_b64 s[2:3], s[6:7], 3
	v_mul_hi_u32 v3, 0x4ec4ec5, v0
	s_wait_alu 0xfffe
	s_add_nc_u64 s[2:3], s[12:13], s[2:3]
	s_load_b64 s[0:1], s[0:1], 0x20
	s_load_b64 s[2:3], s[2:3], 0x0
                                        ; implicit-def: $vgpr65
                                        ; implicit-def: $vgpr66
                                        ; implicit-def: $vgpr67
                                        ; implicit-def: $vgpr68
                                        ; implicit-def: $vgpr69
                                        ; implicit-def: $vgpr64
	s_delay_alu instid0(VALU_DEP_1) | instskip(NEXT) | instid1(VALU_DEP_1)
	v_mul_u32_u24_e32 v3, 52, v3
	v_sub_nc_u32_e32 v54, v0, v3
	s_delay_alu instid0(VALU_DEP_1)
	v_add_nc_u32_e32 v60, 52, v54
	v_add_nc_u32_e32 v58, 0x68, v54
	;; [unrolled: 1-line block ×4, first 2 shown]
	s_wait_kmcnt 0x0
	v_cmp_gt_u64_e32 vcc_lo, s[0:1], v[7:8]
	v_mul_lo_u32 v3, s2, v8
	v_mul_lo_u32 v4, s3, v7
	v_mad_co_u64_u32 v[0:1], null, s2, v7, v[1:2]
	v_cmp_le_u64_e64 s0, s[0:1], v[7:8]
	v_add_nc_u32_e32 v55, 0x104, v54
	v_add_nc_u32_e32 v71, 0x1a0, v54
	;; [unrolled: 1-line block ×4, first 2 shown]
                                        ; implicit-def: $sgpr2_sgpr3
	v_add3_u32 v1, v4, v1, v3
	s_and_saveexec_b32 s1, s0
	s_wait_alu 0xfffe
	s_xor_b32 s0, exec_lo, s1
; %bb.10:
	v_add_nc_u32_e32 v65, 52, v54
	v_add_nc_u32_e32 v66, 0x68, v54
	;; [unrolled: 1-line block ×9, first 2 shown]
	s_mov_b64 s[2:3], 0
; %bb.11:
	s_wait_alu 0xfffe
	s_or_saveexec_b32 s1, s0
	v_lshlrev_b64_e32 v[0:1], 3, v[0:1]
	v_dual_mov_b32 v5, s3 :: v_dual_add_nc_u32 v62, 0x2d8, v54
	v_mov_b32_e32 v13, s3
	v_mov_b32_e32 v11, s3
	;; [unrolled: 1-line block ×10, first 2 shown]
	v_dual_mov_b32 v43, s3 :: v_dual_mov_b32 v42, s2
	v_dual_mov_b32 v2, s2 :: v_dual_mov_b32 v3, s3
	v_dual_mov_b32 v4, s2 :: v_dual_add_nc_u32 v63, 0x2a4, v54
	v_dual_mov_b32 v12, s2 :: v_dual_add_nc_u32 v61, 0x30c, v54
	v_or_b32_e32 v57, 0x340, v54
	v_mov_b32_e32 v10, s2
	v_mov_b32_e32 v18, s2
	;; [unrolled: 1-line block ×9, first 2 shown]
                                        ; implicit-def: $vgpr9
                                        ; implicit-def: $vgpr7
                                        ; implicit-def: $vgpr15
                                        ; implicit-def: $vgpr23
                                        ; implicit-def: $vgpr33
                                        ; implicit-def: $vgpr31
                                        ; implicit-def: $vgpr41
                                        ; implicit-def: $vgpr39
                                        ; implicit-def: $vgpr53
                                        ; implicit-def: $vgpr49
                                        ; implicit-def: $vgpr51
                                        ; implicit-def: $vgpr25
                                        ; implicit-def: $vgpr17
	s_wait_alu 0xfffe
	s_xor_b32 exec_lo, exec_lo, s1
	s_cbranch_execz .LBB0_13
; %bb.12:
	v_mad_co_u64_u32 v[2:3], null, s8, v54, 0
	v_mad_co_u64_u32 v[4:5], null, s8, v63, 0
	;; [unrolled: 1-line block ×3, first 2 shown]
	v_add_co_u32 v73, s0, s10, v0
	s_wait_alu 0xf1ff
	v_add_co_ci_u32_e64 v74, s0, s11, v1, s0
	s_delay_alu instid0(VALU_DEP_4) | instskip(SKIP_4) | instid1(VALU_DEP_4)
	v_mad_co_u64_u32 v[8:9], null, s9, v54, v[3:4]
	v_mad_co_u64_u32 v[9:10], null, s8, v62, 0
	v_mad_co_u64_u32 v[11:12], null, s9, v63, v[5:6]
	v_mad_co_u64_u32 v[12:13], null, s8, v58, 0
	v_mad_co_u64_u32 v[20:21], null, s8, v57, 0
	v_mov_b32_e32 v5, v10
	v_mad_co_u64_u32 v[22:23], null, s8, v56, 0
	v_mad_co_u64_u32 v[24:25], null, s8, v55, 0
	s_delay_alu instid0(VALU_DEP_3) | instskip(SKIP_3) | instid1(VALU_DEP_4)
	v_mad_co_u64_u32 v[14:15], null, s9, v62, v[5:6]
	v_mov_b32_e32 v3, v8
	v_mad_co_u64_u32 v[7:8], null, s9, v60, v[7:8]
	v_dual_mov_b32 v8, v13 :: v_dual_add_nc_u32 v37, 0x16c, v54
	v_dual_mov_b32 v10, v14 :: v_dual_add_nc_u32 v45, 0x444, v54
	v_mad_co_u64_u32 v[14:15], null, s8, v61, 0
	v_mov_b32_e32 v5, v11
	v_lshlrev_b64_e32 v[2:3], 3, v[2:3]
	s_delay_alu instid0(VALU_DEP_4) | instskip(SKIP_3) | instid1(VALU_DEP_4)
	v_lshlrev_b64_e32 v[9:10], 3, v[9:10]
	v_lshlrev_b64_e32 v[6:7], 3, v[6:7]
	v_mad_co_u64_u32 v[32:33], null, s8, v37, 0
	v_mad_co_u64_u32 v[39:40], null, s8, v45, 0
	;; [unrolled: 1-line block ×3, first 2 shown]
	v_mov_b32_e32 v8, v15
	v_lshlrev_b64_e32 v[4:5], 3, v[4:5]
	v_add_co_u32 v2, s0, v73, v2
	s_wait_alu 0xf1ff
	v_add_co_ci_u32_e64 v3, s0, v74, v3, s0
	v_mad_co_u64_u32 v[17:18], null, s9, v61, v[8:9]
	s_delay_alu instid0(VALU_DEP_4)
	v_add_co_u32 v4, s0, v73, v4
	s_wait_alu 0xf1ff
	v_add_co_ci_u32_e64 v5, s0, v74, v5, s0
	v_add_co_u32 v6, s0, v73, v6
	s_wait_alu 0xf1ff
	v_add_co_ci_u32_e64 v7, s0, v74, v7, s0
	v_dual_mov_b32 v13, v16 :: v_dual_mov_b32 v16, v21
	v_add_co_u32 v18, s0, v73, v9
	s_wait_alu 0xf1ff
	v_add_co_ci_u32_e64 v19, s0, v74, v10, s0
	v_mad_co_u64_u32 v[10:11], null, s8, v59, 0
	v_lshlrev_b64_e32 v[12:13], 3, v[12:13]
	v_mov_b32_e32 v15, v17
	s_clause 0x3
	global_load_b64 v[2:3], v[2:3], off
	global_load_b64 v[8:9], v[4:5], off
	;; [unrolled: 1-line block ×4, first 2 shown]
	v_add_nc_u32_e32 v26, 0x374, v54
	v_add_nc_u32_e32 v49, 0x478, v54
	;; [unrolled: 1-line block ×3, first 2 shown]
	v_mad_co_u64_u32 v[17:18], null, s9, v59, v[11:12]
	v_add_co_u32 v12, s0, v73, v12
	v_add_nc_u32_e32 v28, 0x3a8, v54
	s_wait_alu 0xf1ff
	v_add_co_ci_u32_e64 v13, s0, v74, v13, s0
	v_add_nc_u32_e32 v67, 0x4e0, v54
	v_mad_co_u64_u32 v[18:19], null, s9, v57, v[16:17]
	v_dual_mov_b32 v11, v17 :: v_dual_mov_b32 v16, v23
	v_lshlrev_b64_e32 v[14:15], 3, v[14:15]
	v_mad_co_u64_u32 v[65:66], null, s8, v72, 0
	s_delay_alu instid0(VALU_DEP_3) | instskip(SKIP_1) | instid1(VALU_DEP_4)
	v_lshlrev_b64_e32 v[10:11], 3, v[10:11]
	v_dual_mov_b32 v21, v18 :: v_dual_add_nc_u32 v64, 0x138, v54
	v_add_co_u32 v14, s0, v73, v14
	s_wait_alu 0xf1ff
	v_add_co_ci_u32_e64 v15, s0, v74, v15, s0
	s_delay_alu instid0(VALU_DEP_3) | instskip(SKIP_4) | instid1(VALU_DEP_4)
	v_lshlrev_b64_e32 v[17:18], 3, v[20:21]
	v_add_co_u32 v10, s0, v73, v10
	s_wait_alu 0xf1ff
	v_add_co_ci_u32_e64 v11, s0, v74, v11, s0
	v_add_nc_u32_e32 v34, 0x3dc, v54
	v_mad_co_u64_u32 v[19:20], null, s9, v56, v[16:17]
	v_mad_co_u64_u32 v[20:21], null, s8, v26, 0
	v_add_co_u32 v16, s0, v73, v17
	s_wait_alu 0xf1ff
	v_add_co_ci_u32_e64 v17, s0, v74, v18, s0
	s_delay_alu instid0(VALU_DEP_4)
	v_mov_b32_e32 v23, v19
	s_clause 0x3
	global_load_b64 v[12:13], v[12:13], off
	global_load_b64 v[14:15], v[14:15], off
	global_load_b64 v[10:11], v[10:11], off
	global_load_b64 v[16:17], v[16:17], off
	v_mov_b32_e32 v18, v21
	v_mad_co_u64_u32 v[30:31], null, s8, v34, 0
	v_lshlrev_b64_e32 v[22:23], 3, v[22:23]
	v_add_nc_u32_e32 v38, 0x410, v54
	s_delay_alu instid0(VALU_DEP_4)
	v_mad_co_u64_u32 v[18:19], null, s9, v26, v[18:19]
	v_mov_b32_e32 v19, v25
	v_mad_co_u64_u32 v[26:27], null, s8, v28, 0
	v_add_co_u32 v22, s0, v73, v22
	s_wait_alu 0xf1ff
	v_add_co_ci_u32_e64 v23, s0, v74, v23, s0
	v_mov_b32_e32 v21, v18
	v_mad_co_u64_u32 v[18:19], null, s9, v55, v[19:20]
	v_dual_mov_b32 v19, v27 :: v_dual_add_nc_u32 v48, 0x1d4, v54
	s_delay_alu instid0(VALU_DEP_3) | instskip(NEXT) | instid1(VALU_DEP_3)
	v_lshlrev_b64_e32 v[20:21], 3, v[20:21]
	v_dual_mov_b32 v25, v18 :: v_dual_add_nc_u32 v50, 0x4ac, v54
	s_delay_alu instid0(VALU_DEP_2) | instskip(SKIP_2) | instid1(VALU_DEP_4)
	v_mad_co_u64_u32 v[18:19], null, s9, v28, v[19:20]
	v_mad_co_u64_u32 v[28:29], null, s8, v64, 0
	v_add_co_u32 v20, s0, v73, v20
	v_lshlrev_b64_e32 v[24:25], 3, v[24:25]
	s_wait_alu 0xf1ff
	v_add_co_ci_u32_e64 v21, s0, v74, v21, s0
	s_delay_alu instid0(VALU_DEP_4) | instskip(NEXT) | instid1(VALU_DEP_3)
	v_dual_mov_b32 v27, v18 :: v_dual_mov_b32 v18, v29
	v_add_co_u32 v24, s0, v73, v24
	s_delay_alu instid0(VALU_DEP_2) | instskip(NEXT) | instid1(VALU_DEP_3)
	v_lshlrev_b64_e32 v[26:27], 3, v[26:27]
	v_mad_co_u64_u32 v[18:19], null, s9, v64, v[18:19]
	v_mov_b32_e32 v19, v31
	s_wait_alu 0xf1ff
	v_add_co_ci_u32_e64 v25, s0, v74, v25, s0
	v_mov_b32_e32 v31, v33
	v_add_co_u32 v26, s0, v73, v26
	v_mad_co_u64_u32 v[34:35], null, s9, v34, v[19:20]
	v_mov_b32_e32 v29, v18
	s_wait_alu 0xf1ff
	v_add_co_ci_u32_e64 v27, s0, v74, v27, s0
	v_mad_co_u64_u32 v[35:36], null, s8, v38, 0
	s_clause 0x3
	global_load_b64 v[18:19], v[22:23], off
	global_load_b64 v[22:23], v[20:21], off
	;; [unrolled: 1-line block ×4, first 2 shown]
	v_lshlrev_b64_e32 v[26:27], 3, v[28:29]
	v_mad_co_u64_u32 v[28:29], null, s9, v37, v[31:32]
	v_mov_b32_e32 v31, v34
	v_mov_b32_e32 v29, v36
	s_delay_alu instid0(VALU_DEP_4) | instskip(NEXT) | instid1(VALU_DEP_3)
	v_add_co_u32 v26, s0, v73, v26
	v_lshlrev_b64_e32 v[30:31], 3, v[30:31]
	v_mov_b32_e32 v33, v28
	s_wait_alu 0xf1ff
	v_add_co_ci_u32_e64 v27, s0, v74, v27, s0
	s_delay_alu instid0(VALU_DEP_3) | instskip(SKIP_4) | instid1(VALU_DEP_4)
	v_mad_co_u64_u32 v[28:29], null, s9, v38, v[29:30]
	v_mad_co_u64_u32 v[37:38], null, s8, v71, 0
	v_add_co_u32 v29, s0, v73, v30
	s_wait_alu 0xf1ff
	v_add_co_ci_u32_e64 v30, s0, v74, v31, s0
	v_mov_b32_e32 v36, v28
	v_lshlrev_b64_e32 v[31:32], 3, v[32:33]
	v_mov_b32_e32 v28, v38
	s_delay_alu instid0(VALU_DEP_1) | instskip(SKIP_1) | instid1(VALU_DEP_4)
	v_mad_co_u64_u32 v[33:34], null, s9, v71, v[28:29]
	v_mov_b32_e32 v28, v40
	v_add_co_u32 v41, s0, v73, v31
	s_wait_alu 0xf1ff
	v_add_co_ci_u32_e64 v42, s0, v74, v32, s0
	s_delay_alu instid0(VALU_DEP_3) | instskip(SKIP_4) | instid1(VALU_DEP_4)
	v_mad_co_u64_u32 v[45:46], null, s9, v45, v[28:29]
	v_mov_b32_e32 v38, v33
	v_lshlrev_b64_e32 v[31:32], 3, v[35:36]
	v_mad_co_u64_u32 v[34:35], null, s8, v48, 0
	v_mad_co_u64_u32 v[46:47], null, s8, v49, 0
	v_lshlrev_b64_e32 v[36:37], 3, v[37:38]
	s_delay_alu instid0(VALU_DEP_4)
	v_add_co_u32 v43, s0, v73, v31
	v_mov_b32_e32 v40, v45
	s_wait_alu 0xf1ff
	v_add_co_ci_u32_e64 v44, s0, v74, v32, s0
	s_clause 0x3
	global_load_b64 v[26:27], v[26:27], off
	global_load_b64 v[32:33], v[29:30], off
	;; [unrolled: 1-line block ×4, first 2 shown]
	v_mad_co_u64_u32 v[41:42], null, s9, v48, v[35:36]
	v_lshlrev_b64_e32 v[39:40], 3, v[39:40]
	v_mov_b32_e32 v38, v47
	v_add_co_u32 v36, s0, v73, v36
	s_wait_alu 0xf1ff
	v_add_co_ci_u32_e64 v37, s0, v74, v37, s0
	v_mov_b32_e32 v35, v41
	v_mad_co_u64_u32 v[41:42], null, s9, v49, v[38:39]
	v_mad_co_u64_u32 v[42:43], null, s8, v70, 0
	v_add_co_u32 v38, s0, v73, v39
	v_mad_co_u64_u32 v[44:45], null, s8, v50, 0
	s_wait_alu 0xf1ff
	v_add_co_ci_u32_e64 v39, s0, v74, v40, s0
	s_delay_alu instid0(VALU_DEP_4) | instskip(SKIP_2) | instid1(VALU_DEP_3)
	v_dual_mov_b32 v40, v43 :: v_dual_mov_b32 v47, v41
	v_lshlrev_b64_e32 v[34:35], 3, v[34:35]
	v_mad_co_u64_u32 v[48:49], null, s8, v53, 0
	v_mad_co_u64_u32 v[40:41], null, s9, v70, v[40:41]
	s_delay_alu instid0(VALU_DEP_4) | instskip(SKIP_4) | instid1(VALU_DEP_3)
	v_lshlrev_b64_e32 v[46:47], 3, v[46:47]
	v_mov_b32_e32 v41, v45
	v_add_co_u32 v34, s0, v73, v34
	s_wait_alu 0xf1ff
	v_add_co_ci_u32_e64 v35, s0, v74, v35, s0
	v_mad_co_u64_u32 v[50:51], null, s9, v50, v[41:42]
	v_add_co_u32 v45, s0, v73, v46
	v_mad_co_u64_u32 v[51:52], null, s8, v67, 0
	s_wait_alu 0xf1ff
	v_add_co_ci_u32_e64 v46, s0, v74, v47, s0
	v_mov_b32_e32 v47, v49
	v_mov_b32_e32 v43, v40
	s_clause 0x3
	global_load_b64 v[36:37], v[36:37], off
	global_load_b64 v[40:41], v[38:39], off
	;; [unrolled: 1-line block ×4, first 2 shown]
	v_dual_mov_b32 v45, v50 :: v_dual_add_nc_u32 v50, 0x514, v54
	v_mad_co_u64_u32 v[46:47], null, s9, v53, v[47:48]
	v_mov_b32_e32 v47, v52
	v_lshlrev_b64_e32 v[42:43], 3, v[42:43]
	s_delay_alu instid0(VALU_DEP_4) | instskip(NEXT) | instid1(VALU_DEP_3)
	v_lshlrev_b64_e32 v[44:45], 3, v[44:45]
	v_mad_co_u64_u32 v[52:53], null, s9, v67, v[47:48]
	v_mad_co_u64_u32 v[67:68], null, s8, v50, 0
	v_mov_b32_e32 v47, v66
	v_mov_b32_e32 v49, v46
	v_add_co_u32 v42, s0, v73, v42
	s_wait_alu 0xf1ff
	v_add_co_ci_u32_e64 v43, s0, v74, v43, s0
	v_mad_co_u64_u32 v[46:47], null, s9, v72, v[47:48]
	v_lshlrev_b64_e32 v[48:49], 3, v[48:49]
	v_mov_b32_e32 v47, v68
	v_add_co_u32 v44, s0, v73, v44
	s_wait_alu 0xf1ff
	v_add_co_ci_u32_e64 v45, s0, v74, v45, s0
	s_delay_alu instid0(VALU_DEP_3)
	v_mad_co_u64_u32 v[68:69], null, s9, v50, v[47:48]
	v_mov_b32_e32 v66, v46
	v_lshlrev_b64_e32 v[50:51], 3, v[51:52]
	v_add_co_u32 v48, s0, v73, v48
	s_wait_alu 0xf1ff
	v_add_co_ci_u32_e64 v49, s0, v74, v49, s0
	v_lshlrev_b64_e32 v[46:47], 3, v[65:66]
	s_delay_alu instid0(VALU_DEP_4) | instskip(SKIP_3) | instid1(VALU_DEP_4)
	v_add_co_u32 v50, s0, v73, v50
	v_lshlrev_b64_e32 v[52:53], 3, v[67:68]
	s_wait_alu 0xf1ff
	v_add_co_ci_u32_e64 v51, s0, v74, v51, s0
	v_add_co_u32 v65, s0, v73, v46
	s_wait_alu 0xf1ff
	v_add_co_ci_u32_e64 v66, s0, v74, v47, s0
	v_add_co_u32 v67, s0, v73, v52
	s_wait_alu 0xf1ff
	v_add_co_ci_u32_e64 v68, s0, v74, v53, s0
	s_clause 0x5
	global_load_b64 v[46:47], v[42:43], off
	global_load_b64 v[52:53], v[44:45], off
	;; [unrolled: 1-line block ×6, first 2 shown]
	v_dual_mov_b32 v68, v56 :: v_dual_mov_b32 v69, v55
	v_dual_mov_b32 v67, v59 :: v_dual_mov_b32 v66, v58
	v_mov_b32_e32 v65, v60
.LBB0_13:
	s_or_b32 exec_lo, exec_lo, s1
	s_wait_loadcnt 0x6
	v_dual_sub_f32 v76, v4, v6 :: v_dual_sub_f32 v39, v35, v39
	v_sub_f32_e32 v78, v5, v7
	v_sub_f32_e32 v6, v10, v16
	v_sub_f32_e32 v74, v3, v9
	v_sub_f32_e32 v8, v2, v8
	v_sub_f32_e32 v82, v21, v25
	v_fma_f32 v77, v5, 2.0, -v78
	v_fma_f32 v5, v10, 2.0, -v6
	v_dual_sub_f32 v10, v18, v22 :: v_dual_sub_f32 v25, v36, v40
	v_fma_f32 v73, v3, 2.0, -v74
	v_sub_f32_e32 v3, v12, v14
	v_fma_f32 v7, v2, 2.0, -v8
	s_delay_alu instid0(VALU_DEP_4)
	v_fma_f32 v9, v18, 2.0, -v10
	v_sub_f32_e32 v18, v26, v32
	v_sub_f32_e32 v32, v29, v31
	;; [unrolled: 1-line block ×3, first 2 shown]
	v_fma_f32 v2, v12, 2.0, -v3
	v_sub_f32_e32 v12, v20, v24
	v_sub_f32_e32 v22, v28, v30
	v_fma_f32 v31, v29, 2.0, -v32
	v_dual_sub_f32 v29, v34, v38 :: v_dual_sub_f32 v14, v13, v15
	s_wait_loadcnt 0x4
	v_sub_f32_e32 v53, v47, v53
	v_sub_f32_e32 v80, v19, v23
	s_wait_loadcnt 0x0
	v_dual_sub_f32 v84, v37, v41 :: v_dual_sub_f32 v41, v42, v48
	v_fma_f32 v15, v11, 2.0, -v16
	v_fma_f32 v11, v20, 2.0, -v12
	v_sub_f32_e32 v20, v27, v33
	v_fma_f32 v81, v21, 2.0, -v82
	v_fma_f32 v21, v28, 2.0, -v22
	v_fma_f32 v28, v34, 2.0, -v29
	v_sub_f32_e32 v34, v44, v50
	v_fma_f32 v75, v4, 2.0, -v76
	v_fma_f32 v17, v26, 2.0, -v18
	v_fma_f32 v24, v36, 2.0, -v25
	v_sub_f32_e32 v36, v46, v52
	v_fma_f32 v52, v47, 2.0, -v53
	v_lshl_add_u32 v4, v54, 3, 0
	v_lshl_add_u32 v47, v65, 3, 0
	;; [unrolled: 1-line block ×4, first 2 shown]
	v_fma_f32 v79, v19, 2.0, -v80
	v_fma_f32 v19, v27, 2.0, -v20
	v_lshl_add_u32 v27, v68, 3, 0
	v_fma_f32 v33, v44, 2.0, -v34
	v_sub_f32_e32 v44, v43, v49
	v_lshl_add_u32 v49, v69, 3, 0
	v_lshl_add_u32 v23, v64, 3, 0
	ds_store_b64 v4, v[7:8]
	ds_store_b64 v47, v[75:76]
	;; [unrolled: 1-line block ×6, first 2 shown]
	v_lshl_add_u32 v5, v71, 3, 0
	v_fma_f32 v38, v35, 2.0, -v39
	v_fma_f32 v35, v46, 2.0, -v36
	ds_store_b64 v23, v[17:18]
	v_lshl_add_u32 v17, v70, 3, 0
	v_fma_f32 v40, v42, 2.0, -v41
	v_lshl_add_u32 v18, v72, 3, 0
	ds_store_b64 v4, v[21:22] offset:2912
	ds_store_b64 v5, v[24:25]
	ds_store_b64 v4, v[28:29] offset:3744
	ds_store_b64 v17, v[35:36]
	;; [unrolled: 2-line block ×3, first 2 shown]
	v_lshlrev_b32_e32 v29, 2, v64
	v_lshlrev_b32_e32 v6, 2, v71
	;; [unrolled: 1-line block ×4, first 2 shown]
	v_lshl_add_u32 v40, v54, 2, 0
	v_sub_nc_u32_e32 v7, v23, v29
	v_sub_nc_u32_e32 v10, v5, v6
	;; [unrolled: 1-line block ×4, first 2 shown]
	global_wb scope:SCOPE_SE
	s_wait_dscnt 0x0
	s_barrier_signal -1
	s_barrier_wait -1
	global_inv scope:SCOPE_SE
	ds_load_2addr_b32 v[2:3], v40 offset1:156
	ds_load_b32 v122, v7
	ds_load_b32 v123, v10
	;; [unrolled: 1-line block ×4, first 2 shown]
	v_add_nc_u32_e32 v34, 0x800, v40
	v_add_nc_u32_e32 v36, 0xc00, v40
	v_lshlrev_b32_e32 v25, 2, v68
	v_lshlrev_b32_e32 v24, 2, v66
	v_fma_f32 v83, v37, 2.0, -v84
	v_add_nc_u32_e32 v37, 0x1000, v40
	ds_load_2addr_b32 v[98:99], v34 offset0:164 offset1:216
	ds_load_2addr_b32 v[100:101], v36 offset0:12 offset1:64
	v_add_nc_u32_e32 v22, 0xe00, v40
	v_add_nc_u32_e32 v28, 0x400, v40
	v_fma_f32 v13, v13, 2.0, -v14
	v_add_nc_u32_e32 v6, 0x600, v40
	v_sub_nc_u32_e32 v9, v27, v25
	v_sub_nc_u32_e32 v8, v26, v24
	ds_load_2addr_b32 v[102:103], v36 offset0:116 offset1:168
	ds_load_2addr_b32 v[104:105], v22 offset0:92 offset1:144
	;; [unrolled: 1-line block ×3, first 2 shown]
	v_lshl_add_u32 v35, v65, 2, 0
	ds_load_2addr_b32 v[108:109], v37 offset0:172 offset1:224
	ds_load_2addr_b32 v[41:42], v28 offset0:4 offset1:108
	;; [unrolled: 1-line block ×3, first 2 shown]
	ds_load_b32 v70, v9
	ds_load_b32 v126, v8
	;; [unrolled: 1-line block ×3, first 2 shown]
	ds_load_b32 v127, v40 offset:5200
	global_wb scope:SCOPE_SE
	s_wait_dscnt 0x0
	s_barrier_signal -1
	s_barrier_wait -1
	global_inv scope:SCOPE_SE
	ds_store_b64 v4, v[73:74]
	ds_store_b64 v47, v[77:78]
	;; [unrolled: 1-line block ×5, first 2 shown]
	v_dual_sub_f32 v46, v45, v51 :: v_dual_and_b32 v13, 1, v54
	ds_store_b64 v49, v[81:82]
	ds_store_b64 v23, v[19:20]
	ds_store_b64 v4, v[31:32] offset:2912
	ds_store_b64 v5, v[83:84]
	v_fma_f32 v43, v43, 2.0, -v44
	v_cmp_gt_u32_e64 s0, 26, v54
	v_mul_u32_u24_e32 v5, 12, v13
	v_fma_f32 v45, v45, 2.0, -v46
	ds_store_b64 v4, v[38:39] offset:3744
	ds_store_b64 v17, v[52:53]
	ds_store_b64 v4, v[45:46] offset:4576
	ds_store_b64 v18, v[43:44]
	v_lshlrev_b32_e32 v4, 3, v5
	global_wb scope:SCOPE_SE
	s_wait_dscnt 0x0
	s_barrier_signal -1
	s_barrier_wait -1
	global_inv scope:SCOPE_SE
	s_clause 0x5
	global_load_b128 v[18:21], v4, s[4:5]
	global_load_b128 v[78:81], v4, s[4:5] offset:16
	global_load_b128 v[82:85], v4, s[4:5] offset:32
	;; [unrolled: 1-line block ×5, first 2 shown]
	s_wait_loadcnt 0x5
	v_mul_f32_e32 v131, v126, v19
	s_wait_loadcnt 0x3
	v_dual_mul_f32 v132, v70, v21 :: v_dual_mul_f32 v71, v124, v83
	s_wait_loadcnt 0x2
	v_mul_f32_e32 v51, v99, v87
	s_wait_loadcnt 0x1
	v_mul_f32_e32 v77, v103, v91
	v_mul_f32_e32 v15, v100, v87
	ds_load_b32 v31, v8
	ds_load_b32 v39, v9
	ds_load_2addr_b32 v[4:5], v40 offset1:156
	ds_load_2addr_b32 v[32:33], v28 offset0:4 offset1:108
	ds_load_b32 v47, v7
	ds_load_b32 v73, v10
	ds_load_b32 v128, v11
	ds_load_b32 v129, v12
	ds_load_2addr_b32 v[52:53], v6 offset0:84 offset1:188
	ds_load_2addr_b32 v[74:75], v34 offset0:164 offset1:216
	;; [unrolled: 1-line block ×7, first 2 shown]
	ds_load_b32 v43, v35
	ds_load_b32 v130, v40 offset:5200
	v_dual_mul_f32 v48, v3, v19 :: v_dual_mul_f32 v17, v102, v89
	s_wait_dscnt 0x10
	v_dual_mul_f32 v44, v41, v21 :: v_dual_fmac_f32 v131, v31, v18
	v_mul_f32_e32 v45, v31, v19
	s_wait_dscnt 0xf
	v_dual_mul_f32 v46, v39, v21 :: v_dual_mul_f32 v31, v104, v91
	s_wait_dscnt 0xe
	v_mul_f32_e32 v49, v5, v19
	s_wait_dscnt 0xd
	v_mul_f32_e32 v19, v32, v21
	v_mul_f32_e32 v133, v33, v79
	;; [unrolled: 1-line block ×3, first 2 shown]
	s_wait_dscnt 0xc
	v_dual_mul_f32 v134, v47, v79 :: v_dual_mul_f32 v143, v105, v93
	v_mul_f32_e32 v135, v122, v79
	s_wait_dscnt 0xb
	v_mul_f32_e32 v79, v73, v81
	v_mul_f32_e32 v76, v123, v81
	s_wait_dscnt 0x8
	v_mul_f32_e32 v136, v52, v81
	v_mul_f32_e32 v21, v110, v81
	;; [unrolled: 1-line block ×3, first 2 shown]
	s_wait_loadcnt_dscnt 0x2
	v_dual_mul_f32 v140, v112, v87 :: v_dual_mul_f32 v145, v121, v97
	v_mul_f32_e32 v16, v111, v83
	v_mul_f32_e32 v137, v128, v83
	v_mul_f32_e32 v83, v129, v85
	v_dual_mul_f32 v50, v125, v85 :: v_dual_fmac_f32 v135, v47, v78
	v_dual_mul_f32 v138, v74, v85 :: v_dual_fmac_f32 v21, v52, v80
	v_dual_mul_f32 v14, v98, v85 :: v_dual_fmac_f32 v71, v128, v82
	v_mul_f32_e32 v85, v75, v87
	v_mul_f32_e32 v139, v113, v89
	v_dual_mul_f32 v72, v101, v89 :: v_dual_fmac_f32 v51, v75, v86
	v_mul_f32_e32 v87, v114, v89
	v_mul_f32_e32 v89, v115, v91
	v_dual_mul_f32 v141, v117, v93 :: v_dual_mul_f32 v142, v116, v91
	v_fma_f32 v126, v126, v18, -v45
	v_fma_f32 v91, v70, v20, -v46
	v_dual_mul_f32 v144, v118, v93 :: v_dual_fmac_f32 v15, v112, v86
	v_dual_fmac_f32 v132, v39, v20 :: v_dual_fmac_f32 v31, v116, v90
	v_mul_f32_e32 v39, v106, v93
	v_fma_f32 v49, v3, v18, -v49
	v_dual_fmac_f32 v48, v5, v18 :: v_dual_fmac_f32 v17, v114, v88
	v_fma_f32 v45, v41, v20, -v19
	v_dual_fmac_f32 v44, v32, v20 :: v_dual_fmac_f32 v77, v115, v90
	v_dual_mul_f32 v20, v119, v95 :: v_dual_fmac_f32 v143, v117, v92
	v_dual_mul_f32 v93, v107, v95 :: v_dual_mul_f32 v146, v109, v97
	v_fmac_f32_e32 v39, v118, v92
	v_fma_f32 v18, v111, v82, -v81
	v_fma_f32 v81, v109, v96, -v145
	;; [unrolled: 1-line block ×3, first 2 shown]
	v_mul_f32_e32 v133, v120, v95
	v_dual_mul_f32 v46, v108, v95 :: v_dual_fmac_f32 v93, v119, v94
	v_fmac_f32_e32 v76, v73, v80
	v_fma_f32 v20, v107, v94, -v20
	v_fmac_f32_e32 v16, v53, v82
	v_fma_f32 v53, v99, v86, -v85
	v_dual_sub_f32 v85, v126, v81 :: v_dual_fmac_f32 v146, v121, v96
	s_wait_dscnt 0x0
	v_dual_fmac_f32 v38, v33, v78 :: v_dual_mul_f32 v95, v130, v97
	v_mul_f32_e32 v70, v127, v97
	v_fma_f32 v97, v122, v78, -v134
	v_fma_f32 v78, v123, v80, -v79
	;; [unrolled: 1-line block ×4, first 2 shown]
	v_fmac_f32_e32 v72, v113, v88
	v_fma_f32 v19, v102, v88, -v87
	v_fma_f32 v79, v103, v90, -v89
	v_fma_f32 v33, v104, v90, -v142
	v_dual_add_f32 v83, v126, v81 :: v_dual_sub_f32 v90, v91, v20
	v_dual_mul_f32 v103, 0xbf6f5d39, v85 :: v_dual_sub_f32 v82, v131, v146
	v_fmac_f32_e32 v14, v74, v84
	v_fma_f32 v74, v101, v88, -v139
	s_delay_alu instid0(VALU_DEP_4) | instskip(SKIP_3) | instid1(VALU_DEP_4)
	v_dual_sub_f32 v88, v132, v93 :: v_dual_mul_f32 v107, 0xbf6f5d39, v90
	v_fma_f32 v32, v110, v80, -v136
	v_fma_f32 v80, v105, v92, -v141
	;; [unrolled: 1-line block ×3, first 2 shown]
	v_mul_f32_e32 v105, 0xbf52af12, v88
	v_dual_fmac_f32 v50, v129, v84 :: v_dual_mul_f32 v95, 0xbf52af12, v82
	v_fma_f32 v3, v98, v84, -v138
	v_fma_f32 v5, v100, v86, -v140
	v_dual_add_f32 v86, v131, v146 :: v_dual_add_f32 v87, v4, v131
	v_mul_f32_e32 v99, 0xbf29c268, v82
	v_fma_f32 v115, 0x3f116cb1, v83, -v95
	v_fmac_f32_e32 v95, 0x3f116cb1, v83
	v_mul_f32_e32 v98, 0xbf6f5d39, v82
	v_fma_f32 v47, v108, v94, -v133
	v_fmac_f32_e32 v46, v120, v94
	v_dual_add_f32 v84, v2, v126 :: v_dual_add_f32 v87, v87, v132
	v_mul_f32_e32 v94, 0xbeedf032, v82
	v_fma_f32 v118, 0xbf3f9e67, v83, -v99
	v_dual_fmac_f32 v99, 0xbf3f9e67, v83 :: v_dual_fmac_f32 v70, v130, v96
	v_dual_mul_f32 v96, 0xbf7e222b, v82 :: v_dual_add_f32 v115, v2, v115
	s_delay_alu instid0(VALU_DEP_2)
	v_dual_mul_f32 v100, 0xbeedf032, v85 :: v_dual_add_f32 v99, v2, v99
	v_add_f32_e32 v95, v2, v95
	v_fma_f32 v117, 0xbeb58ec6, v83, -v98
	v_mul_f32_e32 v82, 0xbe750f2a, v82
	v_fma_f32 v42, v106, v92, -v144
	v_dual_add_f32 v89, v91, v20 :: v_dual_add_f32 v92, v132, v93
	v_mul_f32_e32 v109, 0xbe750f2a, v90
	v_dual_mul_f32 v101, 0xbf52af12, v85 :: v_dual_add_f32 v84, v84, v91
	v_mul_f32_e32 v111, 0x3f29c268, v90
	v_mul_f32_e32 v91, 0xbf52af12, v90
	v_dual_mul_f32 v112, 0x3f7e222b, v88 :: v_dual_mul_f32 v113, 0x3f7e222b, v90
	v_fma_f32 v116, 0x3df6dbef, v83, -v96
	v_fmac_f32_e32 v96, 0x3df6dbef, v83
	v_dual_fmac_f32 v98, 0xbeb58ec6, v83 :: v_dual_fmamk_f32 v127, v92, 0xbeb58ec6, v107
	v_add_f32_e32 v87, v87, v135
	v_fma_f32 v114, 0x3f62ad3f, v83, -v94
	v_dual_fmac_f32 v94, 0x3f62ad3f, v83 :: v_dual_add_f32 v117, v2, v117
	v_fma_f32 v119, 0xbf788fa5, v83, -v82
	v_mul_f32_e32 v102, 0xbf7e222b, v85
	v_dual_fmac_f32 v82, 0xbf788fa5, v83 :: v_dual_fmamk_f32 v129, v92, 0xbf788fa5, v109
	v_dual_fmamk_f32 v83, v86, 0x3f62ad3f, v100 :: v_dual_add_f32 v84, v84, v97
	v_fma_f32 v100, 0x3f62ad3f, v86, -v100
	v_mul_f32_e32 v104, 0xbf29c268, v85
	v_mul_f32_e32 v85, 0xbe750f2a, v85
	v_dual_mul_f32 v90, 0x3eedf032, v90 :: v_dual_add_f32 v87, v87, v76
	v_dual_fmamk_f32 v125, v92, 0x3f116cb1, v91 :: v_dual_add_f32 v114, v2, v114
	v_dual_fmamk_f32 v133, v92, 0x3df6dbef, v113 :: v_dual_add_f32 v94, v2, v94
	v_add_f32_e32 v116, v2, v116
	v_add_f32_e32 v96, v2, v96
	;; [unrolled: 1-line block ×5, first 2 shown]
	v_fmamk_f32 v121, v86, 0x3df6dbef, v102
	v_fma_f32 v102, 0x3df6dbef, v86, -v102
	v_add_f32_e32 v82, v2, v82
	v_add_f32_e32 v2, v4, v83
	v_dual_fmamk_f32 v120, v86, 0x3f116cb1, v101 :: v_dual_add_f32 v83, v4, v100
	v_fmamk_f32 v123, v86, 0xbf3f9e67, v104
	v_fma_f32 v104, 0xbf3f9e67, v86, -v104
	v_fma_f32 v101, 0x3f116cb1, v86, -v101
	s_delay_alu instid0(VALU_DEP_4)
	v_add_f32_e32 v100, v4, v120
	v_fmamk_f32 v124, v86, 0xbf788fa5, v85
	v_fma_f32 v85, 0xbf788fa5, v86, -v85
	v_fma_f32 v91, 0x3f116cb1, v92, -v91
	v_fmamk_f32 v122, v86, 0xbeb58ec6, v103
	v_fma_f32 v103, 0xbeb58ec6, v86, -v103
	v_fma_f32 v86, 0x3f116cb1, v89, -v105
	v_dual_fmac_f32 v105, 0x3f116cb1, v89 :: v_dual_add_f32 v102, v4, v102
	v_fma_f32 v109, 0xbf788fa5, v92, -v109
	v_add_f32_e32 v104, v4, v104
	v_add_f32_e32 v84, v84, v78
	v_dual_add_f32 v120, v4, v121 :: v_dual_add_f32 v83, v91, v83
	v_dual_mul_f32 v108, 0xbe750f2a, v88 :: v_dual_add_f32 v121, v4, v122
	v_dual_add_f32 v122, v4, v123 :: v_dual_add_f32 v91, v127, v100
	v_dual_add_f32 v123, v4, v124 :: v_dual_add_f32 v102, v109, v102
	v_fmamk_f32 v109, v92, 0x3f62ad3f, v90
	v_add_f32_e32 v84, v84, v73
	v_dual_mul_f32 v106, 0xbf6f5d39, v88 :: v_dual_add_f32 v101, v4, v101
	v_dual_mul_f32 v110, 0x3f29c268, v88 :: v_dual_add_f32 v103, v4, v103
	;; [unrolled: 1-line block ×3, first 2 shown]
	s_delay_alu instid0(VALU_DEP_4) | instskip(NEXT) | instid1(VALU_DEP_4)
	v_dual_add_f32 v109, v109, v123 :: v_dual_add_f32 v84, v84, v52
	v_fma_f32 v126, 0xbeb58ec6, v89, -v106
	v_fmac_f32_e32 v106, 0xbeb58ec6, v89
	v_dual_add_f32 v4, v4, v85 :: v_dual_add_f32 v85, v86, v114
	v_add_f32_e32 v86, v87, v50
	v_dual_add_f32 v87, v125, v2 :: v_dual_add_f32 v2, v84, v53
	v_fma_f32 v128, 0xbf788fa5, v89, -v108
	v_dual_fmac_f32 v108, 0xbf788fa5, v89 :: v_dual_add_f32 v95, v106, v95
	v_fma_f32 v130, 0xbf3f9e67, v89, -v110
	v_dual_fmamk_f32 v131, v92, 0xbf3f9e67, v111 :: v_dual_fmac_f32 v110, 0xbf3f9e67, v89
	v_fma_f32 v111, 0xbf3f9e67, v92, -v111
	v_add_f32_e32 v2, v2, v74
	v_fma_f32 v107, 0xbeb58ec6, v92, -v107
	v_fma_f32 v132, 0x3df6dbef, v89, -v112
	;; [unrolled: 1-line block ×3, first 2 shown]
	v_dual_add_f32 v103, v111, v103 :: v_dual_add_f32 v96, v108, v96
	v_sub_f32_e32 v108, v135, v143
	v_add_f32_e32 v106, v130, v117
	v_add_f32_e32 v2, v2, v79
	;; [unrolled: 1-line block ×4, first 2 shown]
	v_dual_fmac_f32 v112, 0x3df6dbef, v89 :: v_dual_add_f32 v101, v128, v116
	s_delay_alu instid0(VALU_DEP_4)
	v_add_f32_e32 v2, v2, v80
	v_add_f32_e32 v94, v105, v94
	global_wb scope:SCOPE_SE
	v_add_f32_e32 v99, v112, v99
	s_barrier_signal -1
	v_add_f32_e32 v2, v2, v20
	s_barrier_wait -1
	global_inv scope:SCOPE_SE
	v_add_f32_e32 v2, v2, v81
	v_fma_f32 v81, 0x3f62ad3f, v89, -v88
	v_fmac_f32_e32 v88, 0x3f62ad3f, v89
	v_fma_f32 v89, 0x3df6dbef, v92, -v113
	v_add_f32_e32 v92, v97, v80
	v_sub_f32_e32 v80, v97, v80
	v_dual_add_f32 v81, v81, v119 :: v_dual_add_f32 v98, v110, v98
	s_delay_alu instid0(VALU_DEP_4) | instskip(NEXT) | instid1(VALU_DEP_3)
	v_dual_add_f32 v89, v89, v104 :: v_dual_add_f32 v104, v135, v143
	v_mul_f32_e32 v110, 0xbf7e222b, v80
	v_dual_mul_f32 v97, 0xbf7e222b, v108 :: v_dual_add_f32 v82, v88, v82
	s_delay_alu instid0(VALU_DEP_2) | instskip(SKIP_1) | instid1(VALU_DEP_3)
	v_dual_add_f32 v113, v45, v47 :: v_dual_fmamk_f32 v88, v104, 0x3df6dbef, v110
	v_fma_f32 v110, 0x3df6dbef, v104, -v110
	v_fma_f32 v111, 0x3df6dbef, v92, -v97
	v_fmac_f32_e32 v97, 0x3df6dbef, v92
	s_delay_alu instid0(VALU_DEP_4) | instskip(SKIP_3) | instid1(VALU_DEP_3)
	v_dual_add_f32 v4, v90, v4 :: v_dual_add_f32 v87, v88, v87
	v_mul_f32_e32 v88, 0xbe750f2a, v80
	v_dual_mul_f32 v90, 0xbe750f2a, v108 :: v_dual_add_f32 v83, v110, v83
	v_dual_add_f32 v84, v86, v51 :: v_dual_add_f32 v85, v111, v85
	v_fmamk_f32 v110, v104, 0xbf788fa5, v88
	s_delay_alu instid0(VALU_DEP_3) | instskip(SKIP_1) | instid1(VALU_DEP_3)
	v_fma_f32 v111, 0xbf788fa5, v92, -v90
	v_dual_add_f32 v94, v97, v94 :: v_dual_mul_f32 v97, 0x3f6f5d39, v108
	v_dual_fmac_f32 v90, 0xbf788fa5, v92 :: v_dual_add_f32 v91, v110, v91
	v_mul_f32_e32 v110, 0x3f6f5d39, v80
	v_add_f32_e32 v86, v126, v115
	v_fma_f32 v88, 0xbf788fa5, v104, -v88
	s_delay_alu instid0(VALU_DEP_4) | instskip(NEXT) | instid1(VALU_DEP_3)
	v_add_f32_e32 v90, v90, v95
	v_add_f32_e32 v86, v111, v86
	v_fma_f32 v111, 0xbeb58ec6, v92, -v97
	v_fmac_f32_e32 v97, 0xbeb58ec6, v92
	s_delay_alu instid0(VALU_DEP_2)
	v_add_f32_e32 v95, v111, v101
	v_fmamk_f32 v101, v104, 0xbeb58ec6, v110
	v_add_f32_e32 v84, v84, v72
	v_fma_f32 v110, 0xbeb58ec6, v104, -v110
	v_mul_f32_e32 v111, 0x3eedf032, v80
	v_add_f32_e32 v96, v97, v96
	v_add_f32_e32 v88, v88, v100
	s_delay_alu instid0(VALU_DEP_4) | instskip(NEXT) | instid1(VALU_DEP_4)
	v_dual_add_f32 v84, v84, v77 :: v_dual_add_f32 v97, v110, v102
	v_fmamk_f32 v102, v104, 0x3f62ad3f, v111
	v_mul_f32_e32 v100, 0x3eedf032, v108
	v_mul_f32_e32 v110, 0xbf52af12, v80
	;; [unrolled: 1-line block ×3, first 2 shown]
	s_delay_alu instid0(VALU_DEP_4) | instskip(SKIP_4) | instid1(VALU_DEP_4)
	v_add_f32_e32 v102, v102, v107
	v_fma_f32 v107, 0x3f62ad3f, v104, -v111
	v_fma_f32 v112, 0x3f62ad3f, v92, -v100
	v_fmac_f32_e32 v100, 0x3f62ad3f, v92
	v_fmamk_f32 v111, v104, 0x3f116cb1, v110
	v_add_f32_e32 v103, v107, v103
	v_dual_mul_f32 v107, 0xbf29c268, v108 :: v_dual_add_f32 v84, v84, v143
	s_delay_alu instid0(VALU_DEP_4) | instskip(NEXT) | instid1(VALU_DEP_2)
	v_add_f32_e32 v98, v100, v98
	v_dual_add_f32 v20, v84, v93 :: v_dual_add_f32 v93, v133, v122
	v_add_f32_e32 v105, v129, v120
	s_delay_alu instid0(VALU_DEP_2) | instskip(NEXT) | instid1(VALU_DEP_2)
	v_add_f32_e32 v93, v111, v93
	v_add_f32_e32 v101, v101, v105
	v_dual_add_f32 v105, v112, v106 :: v_dual_mul_f32 v106, 0xbf52af12, v108
	v_fmamk_f32 v108, v104, 0xbf3f9e67, v80
	v_fma_f32 v80, 0xbf3f9e67, v104, -v80
	s_delay_alu instid0(VALU_DEP_3) | instskip(SKIP_1) | instid1(VALU_DEP_1)
	v_fma_f32 v100, 0x3f116cb1, v92, -v106
	v_fmac_f32_e32 v106, 0x3f116cb1, v92
	v_dual_add_f32 v4, v80, v4 :: v_dual_add_f32 v99, v106, v99
	v_fma_f32 v106, 0x3f116cb1, v104, -v110
	v_add_f32_e32 v84, v132, v118
	v_add_f32_e32 v104, v78, v79
	v_sub_f32_e32 v78, v78, v79
	s_delay_alu instid0(VALU_DEP_3) | instskip(SKIP_2) | instid1(VALU_DEP_4)
	v_dual_add_f32 v79, v106, v89 :: v_dual_add_f32 v84, v100, v84
	v_fma_f32 v100, 0xbf3f9e67, v92, -v107
	v_dual_fmac_f32 v107, 0xbf3f9e67, v92 :: v_dual_sub_f32 v92, v76, v77
	v_dual_add_f32 v76, v76, v77 :: v_dual_mul_f32 v89, 0xbf6f5d39, v78
	s_delay_alu instid0(VALU_DEP_3) | instskip(NEXT) | instid1(VALU_DEP_3)
	v_dual_mul_f32 v106, 0x3f29c268, v78 :: v_dual_add_f32 v81, v100, v81
	v_mul_f32_e32 v110, 0xbf6f5d39, v92
	v_add_f32_e32 v100, v108, v109
	s_delay_alu instid0(VALU_DEP_4)
	v_fmamk_f32 v80, v76, 0xbeb58ec6, v89
	v_fma_f32 v89, 0xbeb58ec6, v76, -v89
	v_mul_f32_e32 v108, 0xbf7e222b, v78
	v_fma_f32 v77, 0xbeb58ec6, v104, -v110
	v_add_f32_e32 v20, v20, v146
	v_add_f32_e32 v80, v80, v87
	;; [unrolled: 1-line block ×3, first 2 shown]
	v_fmamk_f32 v89, v76, 0xbf3f9e67, v106
	v_add_f32_e32 v77, v77, v85
	v_mul_f32_e32 v85, 0x3f29c268, v92
	s_delay_alu instid0(VALU_DEP_3) | instskip(NEXT) | instid1(VALU_DEP_2)
	v_add_f32_e32 v89, v89, v91
	v_fma_f32 v87, 0xbf3f9e67, v104, -v85
	v_dual_fmac_f32 v85, 0xbf3f9e67, v104 :: v_dual_add_f32 v82, v107, v82
	v_mul_f32_e32 v107, 0x3eedf032, v92
	s_delay_alu instid0(VALU_DEP_2) | instskip(NEXT) | instid1(VALU_DEP_2)
	v_add_f32_e32 v85, v85, v90
	v_fma_f32 v91, 0x3f62ad3f, v104, -v107
	v_dual_fmac_f32 v107, 0x3f62ad3f, v104 :: v_dual_add_f32 v86, v87, v86
	v_fma_f32 v87, 0xbf3f9e67, v76, -v106
	v_mul_f32_e32 v106, 0x3eedf032, v78
	s_delay_alu instid0(VALU_DEP_4) | instskip(NEXT) | instid1(VALU_DEP_4)
	v_add_f32_e32 v90, v91, v95
	v_dual_add_f32 v96, v107, v96 :: v_dual_mul_f32 v107, 0x3e750f2a, v78
	s_delay_alu instid0(VALU_DEP_4) | instskip(SKIP_4) | instid1(VALU_DEP_4)
	v_add_f32_e32 v87, v87, v88
	v_mul_f32_e32 v88, 0xbf7e222b, v92
	v_fmamk_f32 v91, v76, 0x3f62ad3f, v106
	v_fma_f32 v95, 0x3f62ad3f, v76, -v106
	v_mul_f32_e32 v78, 0x3f52af12, v78
	v_fma_f32 v106, 0x3df6dbef, v104, -v88
	s_delay_alu instid0(VALU_DEP_4) | instskip(NEXT) | instid1(VALU_DEP_4)
	v_add_f32_e32 v91, v91, v101
	v_add_f32_e32 v95, v95, v97
	v_fmamk_f32 v101, v76, 0x3df6dbef, v108
	s_delay_alu instid0(VALU_DEP_4) | instskip(SKIP_2) | instid1(VALU_DEP_4)
	v_dual_fmac_f32 v88, 0x3df6dbef, v104 :: v_dual_add_f32 v97, v106, v105
	v_mul_f32_e32 v105, 0x3e750f2a, v92
	v_fma_f32 v106, 0x3df6dbef, v76, -v108
	v_dual_add_f32 v101, v101, v102 :: v_dual_mul_f32 v92, 0x3f52af12, v92
	s_delay_alu instid0(VALU_DEP_3) | instskip(NEXT) | instid1(VALU_DEP_1)
	v_fma_f32 v102, 0xbf788fa5, v104, -v105
	v_add_f32_e32 v84, v102, v84
	v_fma_f32 v102, 0xbf788fa5, v76, -v107
	s_delay_alu instid0(VALU_DEP_1) | instskip(SKIP_2) | instid1(VALU_DEP_1)
	v_dual_add_f32 v79, v102, v79 :: v_dual_sub_f32 v102, v71, v72
	v_dual_add_f32 v71, v71, v72 :: v_dual_add_f32 v88, v88, v98
	v_dual_add_f32 v98, v106, v103 :: v_dual_fmamk_f32 v103, v76, 0xbf788fa5, v107
	v_add_f32_e32 v93, v103, v93
	v_fma_f32 v103, 0x3f116cb1, v104, -v92
	s_delay_alu instid0(VALU_DEP_1) | instskip(SKIP_4) | instid1(VALU_DEP_3)
	v_add_f32_e32 v81, v103, v81
	v_fmamk_f32 v103, v76, 0x3f116cb1, v78
	v_fmac_f32_e32 v105, 0xbf788fa5, v104
	v_fma_f32 v76, 0x3f116cb1, v76, -v78
	v_fmac_f32_e32 v92, 0x3f116cb1, v104
	v_dual_fmac_f32 v110, 0xbeb58ec6, v104 :: v_dual_add_f32 v99, v105, v99
	v_sub_f32_e32 v105, v73, v74
	v_add_f32_e32 v73, v73, v74
	v_mul_f32_e32 v74, 0xbf29c268, v102
	v_add_f32_e32 v4, v76, v4
	v_add_f32_e32 v82, v92, v82
	v_mul_f32_e32 v72, 0xbf29c268, v105
	v_mul_f32_e32 v92, 0x3f7e222b, v105
	v_fma_f32 v78, 0xbf3f9e67, v73, -v74
	v_add_f32_e32 v94, v110, v94
	s_delay_alu instid0(VALU_DEP_4) | instskip(SKIP_1) | instid1(VALU_DEP_4)
	v_fmamk_f32 v76, v71, 0xbf3f9e67, v72
	v_fma_f32 v72, 0xbf3f9e67, v71, -v72
	v_dual_add_f32 v77, v78, v77 :: v_dual_mul_f32 v78, 0x3f7e222b, v102
	s_delay_alu instid0(VALU_DEP_3) | instskip(NEXT) | instid1(VALU_DEP_3)
	v_add_f32_e32 v76, v76, v80
	v_dual_add_f32 v72, v72, v83 :: v_dual_fmamk_f32 v83, v71, 0x3df6dbef, v92
	s_delay_alu instid0(VALU_DEP_3) | instskip(SKIP_1) | instid1(VALU_DEP_2)
	v_fma_f32 v80, 0x3df6dbef, v73, -v78
	v_fmac_f32_e32 v78, 0x3df6dbef, v73
	v_dual_add_f32 v83, v83, v89 :: v_dual_add_f32 v80, v80, v86
	v_fma_f32 v86, 0x3df6dbef, v71, -v92
	v_mul_f32_e32 v92, 0xbf52af12, v105
	s_delay_alu instid0(VALU_DEP_4) | instskip(NEXT) | instid1(VALU_DEP_2)
	v_dual_add_f32 v78, v78, v85 :: v_dual_mul_f32 v89, 0x3e750f2a, v102
	v_dual_add_f32 v85, v86, v87 :: v_dual_fmamk_f32 v86, v71, 0x3f116cb1, v92
	s_delay_alu instid0(VALU_DEP_1) | instskip(NEXT) | instid1(VALU_DEP_3)
	v_add_f32_e32 v86, v86, v91
	v_fma_f32 v91, 0xbf788fa5, v73, -v89
	v_fmac_f32_e32 v89, 0xbf788fa5, v73
	s_delay_alu instid0(VALU_DEP_1) | instskip(SKIP_1) | instid1(VALU_DEP_1)
	v_dual_add_f32 v91, v91, v97 :: v_dual_add_f32 v88, v89, v88
	v_fmac_f32_e32 v74, 0xbf3f9e67, v73
	v_dual_mul_f32 v97, 0x3eedf032, v105 :: v_dual_add_f32 v74, v74, v94
	v_mul_f32_e32 v94, 0xbf52af12, v102
	s_delay_alu instid0(VALU_DEP_2) | instskip(SKIP_2) | instid1(VALU_DEP_4)
	v_fmamk_f32 v89, v71, 0x3f62ad3f, v97
	v_add_f32_e32 v100, v103, v100
	v_fma_f32 v97, 0x3f62ad3f, v71, -v97
	v_fma_f32 v103, 0x3f116cb1, v73, -v94
	v_fmac_f32_e32 v94, 0x3f116cb1, v73
	v_add_f32_e32 v89, v89, v93
	v_mul_f32_e32 v93, 0xbf6f5d39, v105
	v_add_f32_e32 v97, v97, v79
	v_add_f32_e32 v87, v103, v90
	v_fma_f32 v90, 0x3f116cb1, v71, -v92
	v_mul_f32_e32 v92, 0x3e750f2a, v105
	v_add_f32_e32 v94, v94, v96
	v_mul_f32_e32 v96, 0x3eedf032, v102
	s_delay_alu instid0(VALU_DEP_3) | instskip(SKIP_1) | instid1(VALU_DEP_3)
	v_dual_add_f32 v90, v90, v95 :: v_dual_fmamk_f32 v95, v71, 0xbf788fa5, v92
	v_fma_f32 v92, 0xbf788fa5, v71, -v92
	v_fma_f32 v103, 0x3f62ad3f, v73, -v96
	v_fmac_f32_e32 v96, 0x3f62ad3f, v73
	s_delay_alu instid0(VALU_DEP_3) | instskip(SKIP_1) | instid1(VALU_DEP_3)
	v_dual_add_f32 v95, v95, v101 :: v_dual_add_f32 v92, v92, v98
	v_mul_f32_e32 v98, 0xbf6f5d39, v102
	v_add_f32_e32 v96, v96, v99
	v_dual_sub_f32 v99, v50, v51 :: v_dual_fmamk_f32 v102, v71, 0xbeb58ec6, v93
	v_dual_add_f32 v84, v103, v84 :: v_dual_add_f32 v103, v52, v53
	s_delay_alu instid0(VALU_DEP_4) | instskip(NEXT) | instid1(VALU_DEP_3)
	v_fma_f32 v101, 0xbeb58ec6, v73, -v98
	v_dual_mul_f32 v79, 0xbe750f2a, v99 :: v_dual_add_f32 v100, v102, v100
	v_sub_f32_e32 v102, v52, v53
	v_fma_f32 v52, 0xbeb58ec6, v71, -v93
	v_add_f32_e32 v93, v50, v51
	s_delay_alu instid0(VALU_DEP_4) | instskip(SKIP_3) | instid1(VALU_DEP_4)
	v_fma_f32 v53, 0xbf788fa5, v103, -v79
	v_fmac_f32_e32 v98, 0xbeb58ec6, v73
	v_mul_f32_e32 v50, 0xbe750f2a, v102
	v_dual_add_f32 v104, v52, v4 :: v_dual_mul_f32 v71, 0x3eedf032, v102
	v_dual_add_f32 v4, v53, v77 :: v_dual_mul_f32 v53, 0x3eedf032, v99
	s_delay_alu instid0(VALU_DEP_3) | instskip(SKIP_1) | instid1(VALU_DEP_4)
	v_fmamk_f32 v51, v93, 0xbf788fa5, v50
	v_fma_f32 v50, 0xbf788fa5, v93, -v50
	v_fmamk_f32 v73, v93, 0x3f62ad3f, v71
	v_add_f32_e32 v101, v101, v81
	v_fma_f32 v52, 0x3f62ad3f, v103, -v53
	s_delay_alu instid0(VALU_DEP_4) | instskip(SKIP_1) | instid1(VALU_DEP_3)
	v_dual_fmac_f32 v79, 0xbf788fa5, v103 :: v_dual_add_f32 v50, v50, v72
	v_dual_mul_f32 v72, 0xbf29c268, v99 :: v_dual_add_f32 v51, v51, v76
	v_dual_add_f32 v77, v52, v80 :: v_dual_add_f32 v52, v73, v83
	v_mul_f32_e32 v76, 0xbf29c268, v102
	s_delay_alu instid0(VALU_DEP_3) | instskip(SKIP_3) | instid1(VALU_DEP_3)
	v_fma_f32 v73, 0xbf3f9e67, v103, -v72
	v_fmac_f32_e32 v72, 0xbf3f9e67, v103
	v_fmac_f32_e32 v53, 0x3f62ad3f, v103
	v_fma_f32 v71, 0x3f62ad3f, v93, -v71
	v_dual_add_f32 v81, v72, v94 :: v_dual_add_f32 v72, v30, v49
	s_delay_alu instid0(VALU_DEP_1) | instskip(SKIP_1) | instid1(VALU_DEP_2)
	v_add_f32_e32 v83, v72, v45
	v_sub_f32_e32 v45, v45, v47
	v_dual_fmamk_f32 v80, v93, 0xbf3f9e67, v76 :: v_dual_add_f32 v83, v83, v41
	s_delay_alu instid0(VALU_DEP_1) | instskip(NEXT) | instid1(VALU_DEP_1)
	v_add_f32_e32 v83, v83, v32
	v_add_f32_e32 v83, v83, v18
	s_delay_alu instid0(VALU_DEP_1) | instskip(SKIP_3) | instid1(VALU_DEP_2)
	v_add_f32_e32 v83, v83, v3
	v_add_f32_e32 v74, v79, v74
	v_dual_add_f32 v79, v53, v78 :: v_dual_add_f32 v78, v43, v48
	v_add_f32_e32 v53, v71, v85
	v_dual_add_f32 v83, v83, v5 :: v_dual_add_f32 v78, v78, v44
	s_delay_alu instid0(VALU_DEP_1) | instskip(NEXT) | instid1(VALU_DEP_1)
	v_dual_add_f32 v83, v83, v19 :: v_dual_add_f32 v78, v78, v38
	v_add_f32_e32 v83, v83, v33
	v_add_f32_e32 v71, v80, v86
	v_mul_f32_e32 v80, 0x3f52af12, v102
	s_delay_alu instid0(VALU_DEP_1)
	v_dual_add_f32 v78, v78, v21 :: v_dual_fmamk_f32 v85, v93, 0x3f116cb1, v80
	v_add_f32_e32 v98, v98, v82
	v_add_f32_e32 v82, v73, v87
	v_fma_f32 v73, 0xbf3f9e67, v93, -v76
	v_mul_f32_e32 v76, 0x3f52af12, v99
	v_add_f32_e32 v78, v78, v16
	s_delay_alu instid0(VALU_DEP_3) | instskip(NEXT) | instid1(VALU_DEP_3)
	v_add_f32_e32 v72, v73, v90
	v_fma_f32 v73, 0x3f116cb1, v103, -v76
	v_fmac_f32_e32 v76, 0x3f116cb1, v103
	s_delay_alu instid0(VALU_DEP_2) | instskip(SKIP_1) | instid1(VALU_DEP_3)
	v_add_f32_e32 v86, v73, v91
	v_add_f32_e32 v73, v85, v95
	;; [unrolled: 1-line block ×3, first 2 shown]
	v_fma_f32 v76, 0x3f116cb1, v93, -v80
	v_dual_mul_f32 v80, 0xbf6f5d39, v99 :: v_dual_mul_f32 v85, 0xbf6f5d39, v102
	s_delay_alu instid0(VALU_DEP_2) | instskip(NEXT) | instid1(VALU_DEP_2)
	v_dual_add_f32 v91, v78, v14 :: v_dual_add_f32 v76, v76, v92
	v_fma_f32 v88, 0xbeb58ec6, v103, -v80
	s_delay_alu instid0(VALU_DEP_3) | instskip(SKIP_2) | instid1(VALU_DEP_4)
	v_fmamk_f32 v90, v93, 0xbeb58ec6, v85
	v_fmac_f32_e32 v80, 0xbeb58ec6, v103
	v_fma_f32 v85, 0xbeb58ec6, v93, -v85
	v_add_f32_e32 v88, v88, v84
	s_delay_alu instid0(VALU_DEP_3) | instskip(SKIP_2) | instid1(VALU_DEP_2)
	v_dual_add_f32 v78, v90, v89 :: v_dual_add_f32 v89, v80, v96
	v_add_f32_e32 v80, v91, v15
	v_dual_mul_f32 v84, 0x3f7e222b, v99 :: v_dual_mul_f32 v91, 0x3f7e222b, v102
	v_add_f32_e32 v90, v80, v17
	s_delay_alu instid0(VALU_DEP_2) | instskip(SKIP_1) | instid1(VALU_DEP_4)
	v_fma_f32 v92, 0x3df6dbef, v103, -v84
	v_add_f32_e32 v80, v85, v97
	v_dual_fmamk_f32 v85, v93, 0x3df6dbef, v91 :: v_dual_fmac_f32 v84, 0x3df6dbef, v103
	s_delay_alu instid0(VALU_DEP_4) | instskip(NEXT) | instid1(VALU_DEP_4)
	v_add_f32_e32 v94, v90, v31
	v_add_f32_e32 v90, v92, v101
	s_delay_alu instid0(VALU_DEP_3) | instskip(SKIP_1) | instid1(VALU_DEP_4)
	v_dual_add_f32 v92, v83, v42 :: v_dual_add_f32 v83, v85, v100
	v_fma_f32 v93, 0x3df6dbef, v93, -v91
	v_add_f32_e32 v85, v94, v39
	v_add_f32_e32 v91, v84, v98
	v_sub_f32_e32 v94, v48, v70
	v_add_f32_e32 v92, v92, v47
	v_add_f32_e32 v48, v48, v70
	;; [unrolled: 1-line block ×5, first 2 shown]
	v_mul_f32_e32 v95, 0xbeedf032, v94
	v_mul_f32_e32 v96, 0xbf7e222b, v94
	v_add_f32_e32 v84, v84, v70
	v_mul_f32_e32 v70, 0xbf52af12, v94
	v_mul_f32_e32 v98, 0xbf6f5d39, v94
	;; [unrolled: 1-line block ×3, first 2 shown]
	v_add_f32_e32 v92, v92, v75
	v_sub_f32_e32 v49, v49, v75
	v_fma_f32 v75, 0x3f62ad3f, v93, -v95
	v_fmac_f32_e32 v95, 0x3f62ad3f, v93
	v_fma_f32 v97, 0x3f116cb1, v93, -v70
	v_fma_f32 v99, 0x3df6dbef, v93, -v96
	v_mul_f32_e32 v94, 0xbe750f2a, v94
	v_fma_f32 v101, 0xbeb58ec6, v93, -v98
	v_fma_f32 v102, 0xbf3f9e67, v93, -v100
	v_fmac_f32_e32 v70, 0x3f116cb1, v93
	v_fmac_f32_e32 v96, 0x3df6dbef, v93
	;; [unrolled: 1-line block ×4, first 2 shown]
	v_fma_f32 v103, 0xbf788fa5, v93, -v94
	v_dual_fmac_f32 v94, 0xbf788fa5, v93 :: v_dual_add_f32 v93, v30, v95
	v_add_f32_e32 v95, v30, v97
	v_add_f32_e32 v97, v30, v99
	;; [unrolled: 1-line block ×3, first 2 shown]
	v_dual_add_f32 v101, v30, v102 :: v_dual_mul_f32 v102, 0xbeedf032, v49
	v_mul_f32_e32 v104, 0xbf52af12, v49
	v_mul_f32_e32 v105, 0xbf7e222b, v49
	v_add_f32_e32 v75, v30, v75
	v_add_f32_e32 v70, v30, v70
	;; [unrolled: 1-line block ×7, first 2 shown]
	v_fmamk_f32 v94, v48, 0x3f62ad3f, v102
	v_fma_f32 v102, 0x3f62ad3f, v48, -v102
	v_fmamk_f32 v106, v48, 0x3f116cb1, v104
	v_mul_f32_e32 v107, 0xbf6f5d39, v49
	v_fmamk_f32 v108, v48, 0x3df6dbef, v105
	v_mul_f32_e32 v109, 0xbf29c268, v49
	v_mul_f32_e32 v49, 0xbe750f2a, v49
	v_fma_f32 v104, 0x3f116cb1, v48, -v104
	v_fma_f32 v105, 0x3df6dbef, v48, -v105
	v_fmamk_f32 v110, v48, 0xbeb58ec6, v107
	v_fma_f32 v107, 0xbeb58ec6, v48, -v107
	v_fmamk_f32 v111, v48, 0xbf3f9e67, v109
	;; [unrolled: 2-line block ×3, first 2 shown]
	v_fma_f32 v48, 0xbf788fa5, v48, -v49
	v_add_f32_e32 v49, v43, v94
	v_add_f32_e32 v94, v43, v102
	v_add_f32_e32 v102, v43, v106
	v_add_f32_e32 v106, v43, v108
	v_sub_f32_e32 v108, v44, v46
	v_add_f32_e32 v44, v44, v46
	v_mul_f32_e32 v46, 0xbf52af12, v45
	v_add_f32_e32 v104, v43, v104
	v_add_f32_e32 v105, v43, v105
	v_dual_mul_f32 v47, 0xbf52af12, v108 :: v_dual_add_f32 v110, v43, v110
	v_add_f32_e32 v107, v43, v107
	v_add_f32_e32 v111, v43, v111
	;; [unrolled: 1-line block ×3, first 2 shown]
	s_delay_alu instid0(VALU_DEP_4) | instskip(SKIP_3) | instid1(VALU_DEP_4)
	v_fma_f32 v114, 0x3f116cb1, v113, -v47
	v_add_f32_e32 v112, v43, v112
	v_dual_add_f32 v43, v43, v48 :: v_dual_fmamk_f32 v48, v44, 0x3f116cb1, v46
	v_fmac_f32_e32 v47, 0x3f116cb1, v113
	v_dual_add_f32 v75, v114, v75 :: v_dual_mul_f32 v114, 0xbf6f5d39, v108
	v_fma_f32 v46, 0x3f116cb1, v44, -v46
	s_delay_alu instid0(VALU_DEP_4) | instskip(SKIP_4) | instid1(VALU_DEP_4)
	v_add_f32_e32 v48, v48, v49
	v_mul_f32_e32 v49, 0xbf6f5d39, v45
	v_add_f32_e32 v47, v47, v93
	v_fma_f32 v115, 0xbeb58ec6, v113, -v114
	v_dual_add_f32 v46, v46, v94 :: v_dual_mul_f32 v93, 0xbe750f2a, v108
	v_fmamk_f32 v94, v44, 0xbeb58ec6, v49
	s_delay_alu instid0(VALU_DEP_3) | instskip(SKIP_1) | instid1(VALU_DEP_4)
	v_dual_fmac_f32 v114, 0xbeb58ec6, v113 :: v_dual_add_f32 v95, v115, v95
	v_fma_f32 v49, 0xbeb58ec6, v44, -v49
	v_fma_f32 v115, 0xbf788fa5, v113, -v93
	s_delay_alu instid0(VALU_DEP_4) | instskip(SKIP_1) | instid1(VALU_DEP_4)
	v_add_f32_e32 v94, v94, v102
	v_mul_f32_e32 v102, 0xbe750f2a, v45
	v_dual_add_f32 v70, v114, v70 :: v_dual_add_f32 v49, v49, v104
	s_delay_alu instid0(VALU_DEP_4) | instskip(NEXT) | instid1(VALU_DEP_3)
	v_dual_add_f32 v97, v115, v97 :: v_dual_mul_f32 v104, 0x3f29c268, v108
	v_dual_fmamk_f32 v114, v44, 0xbf788fa5, v102 :: v_dual_fmac_f32 v93, 0xbf788fa5, v113
	v_fma_f32 v102, 0xbf788fa5, v44, -v102
	v_mul_f32_e32 v115, 0x3f29c268, v45
	s_delay_alu instid0(VALU_DEP_4) | instskip(NEXT) | instid1(VALU_DEP_4)
	v_fma_f32 v116, 0xbf3f9e67, v113, -v104
	v_dual_add_f32 v106, v114, v106 :: v_dual_add_f32 v93, v93, v96
	s_delay_alu instid0(VALU_DEP_4) | instskip(NEXT) | instid1(VALU_DEP_4)
	v_add_f32_e32 v96, v102, v105
	v_fmamk_f32 v102, v44, 0xbf3f9e67, v115
	v_fmac_f32_e32 v104, 0xbf3f9e67, v113
	v_dual_mul_f32 v105, 0x3f7e222b, v108 :: v_dual_mul_f32 v114, 0x3f7e222b, v45
	v_mul_f32_e32 v108, 0x3eedf032, v108
	s_delay_alu instid0(VALU_DEP_4)
	v_add_f32_e32 v102, v102, v110
	v_fma_f32 v110, 0xbf3f9e67, v44, -v115
	v_add_f32_e32 v98, v104, v98
	v_fma_f32 v104, 0x3df6dbef, v113, -v105
	v_fmamk_f32 v115, v44, 0x3df6dbef, v114
	v_fmac_f32_e32 v105, 0x3df6dbef, v113
	v_mul_f32_e32 v45, 0x3eedf032, v45
	v_add_f32_e32 v107, v110, v107
	s_delay_alu instid0(VALU_DEP_4) | instskip(NEXT) | instid1(VALU_DEP_4)
	v_dual_add_f32 v101, v104, v101 :: v_dual_add_f32 v104, v115, v111
	v_dual_sub_f32 v111, v38, v39 :: v_dual_add_f32 v100, v105, v100
	v_fma_f32 v105, 0x3f62ad3f, v113, -v108
	v_fmac_f32_e32 v108, 0x3f62ad3f, v113
	v_fma_f32 v110, 0x3df6dbef, v44, -v114
	v_fmamk_f32 v113, v44, 0x3f62ad3f, v45
	v_fma_f32 v44, 0x3f62ad3f, v44, -v45
	v_add_f32_e32 v45, v41, v42
	v_dual_sub_f32 v41, v41, v42 :: v_dual_mul_f32 v42, 0xbf7e222b, v111
	v_add_f32_e32 v103, v105, v103
	v_add_f32_e32 v38, v38, v39
	v_add_f32_e32 v43, v44, v43
	s_delay_alu instid0(VALU_DEP_4) | instskip(SKIP_3) | instid1(VALU_DEP_3)
	v_mul_f32_e32 v39, 0xbf7e222b, v41
	v_fma_f32 v105, 0x3df6dbef, v45, -v42
	v_add_f32_e32 v30, v108, v30
	v_dual_fmac_f32 v42, 0x3df6dbef, v45 :: v_dual_add_f32 v99, v116, v99
	v_dual_fmamk_f32 v44, v38, 0x3df6dbef, v39 :: v_dual_add_f32 v75, v105, v75
	v_mul_f32_e32 v105, 0xbe750f2a, v111
	v_fma_f32 v39, 0x3df6dbef, v38, -v39
	s_delay_alu instid0(VALU_DEP_4) | instskip(NEXT) | instid1(VALU_DEP_4)
	v_add_f32_e32 v42, v42, v47
	v_add_f32_e32 v44, v44, v48
	v_mul_f32_e32 v48, 0xbe750f2a, v41
	v_fma_f32 v108, 0xbf788fa5, v45, -v105
	v_dual_add_f32 v39, v39, v46 :: v_dual_mul_f32 v46, 0x3f6f5d39, v111
	v_fmac_f32_e32 v105, 0xbf788fa5, v45
	s_delay_alu instid0(VALU_DEP_4) | instskip(NEXT) | instid1(VALU_DEP_4)
	v_fmamk_f32 v47, v38, 0xbf788fa5, v48
	v_add_f32_e32 v95, v108, v95
	v_fma_f32 v48, 0xbf788fa5, v38, -v48
	v_fma_f32 v108, 0xbeb58ec6, v45, -v46
	v_add_f32_e32 v109, v110, v109
	v_dual_add_f32 v47, v47, v94 :: v_dual_mul_f32 v94, 0x3f6f5d39, v41
	s_delay_alu instid0(VALU_DEP_4) | instskip(NEXT) | instid1(VALU_DEP_4)
	v_add_f32_e32 v48, v48, v49
	v_add_f32_e32 v49, v108, v97
	v_dual_mul_f32 v97, 0x3eedf032, v111 :: v_dual_add_f32 v110, v113, v112
	s_delay_alu instid0(VALU_DEP_4) | instskip(SKIP_4) | instid1(VALU_DEP_4)
	v_dual_add_f32 v70, v105, v70 :: v_dual_fmamk_f32 v105, v38, 0xbeb58ec6, v94
	v_fmac_f32_e32 v46, 0xbeb58ec6, v45
	v_fma_f32 v94, 0xbeb58ec6, v38, -v94
	v_mul_f32_e32 v108, 0x3eedf032, v41
	v_fma_f32 v112, 0x3f62ad3f, v45, -v97
	v_dual_add_f32 v105, v105, v106 :: v_dual_add_f32 v46, v46, v93
	s_delay_alu instid0(VALU_DEP_4) | instskip(NEXT) | instid1(VALU_DEP_4)
	v_add_f32_e32 v93, v94, v96
	v_fmamk_f32 v94, v38, 0x3f62ad3f, v108
	s_delay_alu instid0(VALU_DEP_4) | instskip(SKIP_1) | instid1(VALU_DEP_3)
	v_dual_add_f32 v96, v112, v99 :: v_dual_fmac_f32 v97, 0x3f62ad3f, v45
	v_dual_mul_f32 v99, 0xbf52af12, v111 :: v_dual_mul_f32 v106, 0xbf52af12, v41
	v_add_f32_e32 v94, v94, v102
	v_fma_f32 v102, 0x3f62ad3f, v38, -v108
	s_delay_alu instid0(VALU_DEP_4) | instskip(NEXT) | instid1(VALU_DEP_4)
	v_add_f32_e32 v97, v97, v98
	v_fma_f32 v98, 0x3f116cb1, v45, -v99
	v_dual_fmamk_f32 v108, v38, 0x3f116cb1, v106 :: v_dual_fmac_f32 v99, 0x3f116cb1, v45
	s_delay_alu instid0(VALU_DEP_4) | instskip(NEXT) | instid1(VALU_DEP_3)
	v_add_f32_e32 v102, v102, v107
	v_dual_mul_f32 v107, 0xbf29c268, v111 :: v_dual_add_f32 v98, v98, v101
	s_delay_alu instid0(VALU_DEP_3) | instskip(SKIP_2) | instid1(VALU_DEP_4)
	v_add_f32_e32 v101, v108, v104
	v_dual_mul_f32 v41, 0xbf29c268, v41 :: v_dual_sub_f32 v104, v21, v31
	v_add_f32_e32 v99, v99, v100
	v_fma_f32 v100, 0xbf3f9e67, v45, -v107
	v_fmac_f32_e32 v107, 0xbf3f9e67, v45
	v_fma_f32 v45, 0x3f116cb1, v38, -v106
	v_fmamk_f32 v106, v38, 0xbf3f9e67, v41
	v_fma_f32 v38, 0xbf3f9e67, v38, -v41
	v_add_f32_e32 v41, v32, v33
	v_dual_sub_f32 v32, v32, v33 :: v_dual_mul_f32 v33, 0xbf6f5d39, v104
	v_add_f32_e32 v100, v100, v103
	v_add_f32_e32 v21, v21, v31
	s_delay_alu instid0(VALU_DEP_3) | instskip(NEXT) | instid1(VALU_DEP_4)
	v_dual_add_f32 v38, v38, v43 :: v_dual_mul_f32 v31, 0xbf6f5d39, v32
	v_fma_f32 v103, 0xbeb58ec6, v41, -v33
	v_dual_add_f32 v30, v107, v30 :: v_dual_fmac_f32 v33, 0xbeb58ec6, v41
	v_add_f32_e32 v45, v45, v109
	s_delay_alu instid0(VALU_DEP_4) | instskip(NEXT) | instid1(VALU_DEP_4)
	v_fmamk_f32 v43, v21, 0xbeb58ec6, v31
	v_add_f32_e32 v75, v103, v75
	v_mul_f32_e32 v103, 0x3f29c268, v104
	v_fma_f32 v31, 0xbeb58ec6, v21, -v31
	v_add_f32_e32 v33, v33, v42
	v_add_f32_e32 v43, v43, v44
	v_mul_f32_e32 v44, 0x3f29c268, v32
	v_fma_f32 v107, 0xbf3f9e67, v41, -v103
	v_add_f32_e32 v31, v31, v39
	v_mul_f32_e32 v39, 0x3eedf032, v104
	s_delay_alu instid0(VALU_DEP_4) | instskip(NEXT) | instid1(VALU_DEP_4)
	v_dual_fmac_f32 v103, 0xbf3f9e67, v41 :: v_dual_fmamk_f32 v42, v21, 0xbf3f9e67, v44
	v_add_f32_e32 v95, v107, v95
	v_fma_f32 v44, 0xbf3f9e67, v21, -v44
	s_delay_alu instid0(VALU_DEP_4) | instskip(NEXT) | instid1(VALU_DEP_4)
	v_fma_f32 v107, 0x3f62ad3f, v41, -v39
	v_add_f32_e32 v70, v103, v70
	v_dual_add_f32 v42, v42, v47 :: v_dual_mul_f32 v47, 0x3eedf032, v32
	s_delay_alu instid0(VALU_DEP_4) | instskip(NEXT) | instid1(VALU_DEP_4)
	v_add_f32_e32 v44, v44, v48
	v_dual_add_f32 v48, v107, v49 :: v_dual_mul_f32 v49, 0xbf7e222b, v104
	v_fmac_f32_e32 v39, 0x3f62ad3f, v41
	s_delay_alu instid0(VALU_DEP_4)
	v_fmamk_f32 v103, v21, 0x3f62ad3f, v47
	v_fma_f32 v47, 0x3f62ad3f, v21, -v47
	v_mul_f32_e32 v107, 0xbf7e222b, v32
	v_fma_f32 v108, 0x3df6dbef, v41, -v49
	v_add_f32_e32 v39, v39, v46
	v_add_f32_e32 v103, v103, v105
	s_delay_alu instid0(VALU_DEP_4) | instskip(NEXT) | instid1(VALU_DEP_4)
	v_dual_add_f32 v46, v47, v93 :: v_dual_fmamk_f32 v47, v21, 0x3df6dbef, v107
	v_add_f32_e32 v93, v108, v96
	v_mul_f32_e32 v96, 0x3e750f2a, v104
	v_fmac_f32_e32 v49, 0x3df6dbef, v41
	v_fma_f32 v105, 0x3df6dbef, v21, -v107
	v_dual_add_f32 v47, v47, v94 :: v_dual_mul_f32 v94, 0x3e750f2a, v32
	s_delay_alu instid0(VALU_DEP_4) | instskip(NEXT) | instid1(VALU_DEP_4)
	v_fma_f32 v107, 0xbf788fa5, v41, -v96
	v_add_f32_e32 v49, v49, v97
	s_delay_alu instid0(VALU_DEP_4)
	v_dual_add_f32 v97, v105, v102 :: v_dual_mul_f32 v102, 0x3f52af12, v104
	v_fmac_f32_e32 v96, 0xbf788fa5, v41
	v_fmamk_f32 v104, v21, 0xbf788fa5, v94
	v_fma_f32 v94, 0xbf788fa5, v21, -v94
	v_mul_f32_e32 v32, 0x3f52af12, v32
	v_fma_f32 v105, 0x3f116cb1, v41, -v102
	v_add_f32_e32 v96, v96, v99
	v_dual_sub_f32 v99, v16, v17 :: v_dual_add_f32 v106, v106, v110
	s_delay_alu instid0(VALU_DEP_3)
	v_dual_add_f32 v45, v94, v45 :: v_dual_add_f32 v94, v105, v100
	v_fmamk_f32 v100, v21, 0x3f116cb1, v32
	v_dual_fmac_f32 v102, 0x3f116cb1, v41 :: v_dual_sub_f32 v41, v18, v19
	v_add_f32_e32 v18, v18, v19
	v_mul_f32_e32 v19, 0xbf29c268, v99
	v_fma_f32 v21, 0x3f116cb1, v21, -v32
	v_add_f32_e32 v16, v16, v17
	v_dual_mul_f32 v17, 0xbf29c268, v41 :: v_dual_add_f32 v32, v100, v106
	s_delay_alu instid0(VALU_DEP_4) | instskip(SKIP_1) | instid1(VALU_DEP_3)
	v_fma_f32 v100, 0xbf3f9e67, v18, -v19
	v_add_f32_e32 v30, v102, v30
	v_dual_add_f32 v21, v21, v38 :: v_dual_fmamk_f32 v38, v16, 0xbf3f9e67, v17
	v_mul_f32_e32 v102, 0x3f7e222b, v99
	s_delay_alu instid0(VALU_DEP_4)
	v_add_f32_e32 v75, v100, v75
	v_fma_f32 v17, 0xbf3f9e67, v16, -v17
	v_mul_f32_e32 v100, 0x3f7e222b, v41
	v_add_f32_e32 v101, v104, v101
	v_fmac_f32_e32 v19, 0xbf3f9e67, v18
	v_fma_f32 v104, 0x3df6dbef, v18, -v102
	v_add_f32_e32 v38, v38, v43
	v_add_f32_e32 v17, v17, v31
	v_fmamk_f32 v31, v16, 0x3df6dbef, v100
	v_mul_f32_e32 v43, 0xbf52af12, v99
	v_dual_fmac_f32 v102, 0x3df6dbef, v18 :: v_dual_add_f32 v19, v19, v33
	v_add_f32_e32 v33, v104, v95
	v_fma_f32 v95, 0x3df6dbef, v16, -v100
	v_dual_mul_f32 v100, 0xbf52af12, v41 :: v_dual_add_f32 v31, v31, v42
	v_fma_f32 v42, 0x3f116cb1, v18, -v43
	v_add_f32_e32 v70, v102, v70
	v_mul_f32_e32 v102, 0x3e750f2a, v99
	s_delay_alu instid0(VALU_DEP_4) | instskip(NEXT) | instid1(VALU_DEP_4)
	v_dual_add_f32 v44, v95, v44 :: v_dual_fmamk_f32 v95, v16, 0x3f116cb1, v100
	v_dual_add_f32 v42, v42, v48 :: v_dual_fmac_f32 v43, 0x3f116cb1, v18
	v_fma_f32 v48, 0x3f116cb1, v16, -v100
	v_mul_f32_e32 v100, 0x3e750f2a, v41
	v_fma_f32 v104, 0xbf788fa5, v18, -v102
	v_add_f32_e32 v95, v95, v103
	v_add_f32_e32 v39, v43, v39
	;; [unrolled: 1-line block ×3, first 2 shown]
	v_fmamk_f32 v46, v16, 0xbf788fa5, v100
	v_dual_add_f32 v48, v104, v93 :: v_dual_mul_f32 v93, 0x3eedf032, v99
	v_fmac_f32_e32 v102, 0xbf788fa5, v18
	v_dual_mul_f32 v103, 0x3eedf032, v41 :: v_dual_add_f32 v98, v107, v98
	s_delay_alu instid0(VALU_DEP_4) | instskip(NEXT) | instid1(VALU_DEP_4)
	v_add_f32_e32 v46, v46, v47
	v_fma_f32 v47, 0x3f62ad3f, v18, -v93
	s_delay_alu instid0(VALU_DEP_3) | instskip(SKIP_2) | instid1(VALU_DEP_4)
	v_dual_add_f32 v49, v102, v49 :: v_dual_fmamk_f32 v102, v16, 0x3f62ad3f, v103
	v_mul_f32_e32 v99, 0xbf6f5d39, v99
	v_fma_f32 v100, 0xbf788fa5, v16, -v100
	v_add_f32_e32 v47, v47, v98
	s_delay_alu instid0(VALU_DEP_4) | instskip(NEXT) | instid1(VALU_DEP_4)
	v_dual_fmac_f32 v93, 0x3f62ad3f, v18 :: v_dual_add_f32 v98, v102, v101
	v_fma_f32 v101, 0xbeb58ec6, v18, -v99
	s_delay_alu instid0(VALU_DEP_4)
	v_add_f32_e32 v97, v100, v97
	v_fma_f32 v100, 0x3f62ad3f, v16, -v103
	v_mul_f32_e32 v41, 0xbf6f5d39, v41
	v_add_f32_e32 v93, v93, v96
	v_dual_add_f32 v94, v101, v94 :: v_dual_add_f32 v101, v3, v5
	v_dual_sub_f32 v3, v3, v5 :: v_dual_sub_f32 v96, v14, v15
	v_add_f32_e32 v45, v100, v45
	v_fmamk_f32 v100, v16, 0xbeb58ec6, v41
	v_fma_f32 v5, 0xbeb58ec6, v16, -v41
	v_add_f32_e32 v14, v14, v15
	v_mul_f32_e32 v16, 0xbe750f2a, v3
	v_mul_f32_e32 v102, 0xbe750f2a, v96
	v_dual_fmac_f32 v99, 0xbeb58ec6, v18 :: v_dual_add_f32 v18, v100, v32
	v_add_f32_e32 v5, v5, v21
	s_delay_alu instid0(VALU_DEP_4)
	v_fmamk_f32 v21, v14, 0xbf788fa5, v16
	v_mul_f32_e32 v32, 0x3eedf032, v96
	v_fma_f32 v15, 0xbf788fa5, v101, -v102
	v_fma_f32 v16, 0xbf788fa5, v14, -v16
	v_mul_f32_e32 v41, 0x3eedf032, v3
	v_add_f32_e32 v21, v21, v38
	v_fma_f32 v38, 0x3f62ad3f, v101, -v32
	v_add_f32_e32 v15, v15, v75
	s_delay_alu instid0(VALU_DEP_4) | instskip(SKIP_1) | instid1(VALU_DEP_4)
	v_dual_add_f32 v17, v16, v17 :: v_dual_fmamk_f32 v16, v14, 0x3f62ad3f, v41
	v_mul_f32_e32 v75, 0xbf29c268, v96
	v_add_f32_e32 v33, v38, v33
	v_fma_f32 v38, 0x3f62ad3f, v14, -v41
	s_delay_alu instid0(VALU_DEP_4) | instskip(NEXT) | instid1(VALU_DEP_4)
	v_dual_fmac_f32 v32, 0x3f62ad3f, v101 :: v_dual_add_f32 v31, v16, v31
	v_fma_f32 v16, 0xbf3f9e67, v101, -v75
	s_delay_alu instid0(VALU_DEP_3)
	v_dual_mul_f32 v41, 0xbf29c268, v3 :: v_dual_add_f32 v44, v38, v44
	v_mul_f32_e32 v38, 0x3f52af12, v96
	v_add_f32_e32 v30, v99, v30
	v_add_f32_e32 v32, v32, v70
	;; [unrolled: 1-line block ×3, first 2 shown]
	v_fmamk_f32 v42, v14, 0xbf3f9e67, v41
	v_fmac_f32_e32 v75, 0xbf3f9e67, v101
	v_fma_f32 v41, 0xbf3f9e67, v14, -v41
	v_fma_f32 v70, 0x3f116cb1, v101, -v38
	v_mul_f32_e32 v99, 0x3f52af12, v3
	s_delay_alu instid0(VALU_DEP_4) | instskip(NEXT) | instid1(VALU_DEP_4)
	v_dual_fmac_f32 v38, 0x3f116cb1, v101 :: v_dual_add_f32 v39, v75, v39
	v_add_f32_e32 v43, v41, v43
	s_delay_alu instid0(VALU_DEP_4) | instskip(NEXT) | instid1(VALU_DEP_4)
	v_add_f32_e32 v41, v70, v48
	v_fmamk_f32 v48, v14, 0x3f116cb1, v99
	v_dual_mul_f32 v70, 0xbf6f5d39, v96 :: v_dual_mul_f32 v75, 0xbf6f5d39, v3
	v_add_f32_e32 v42, v42, v95
	v_fma_f32 v95, 0x3f116cb1, v14, -v99
	s_delay_alu instid0(VALU_DEP_4) | instskip(NEXT) | instid1(VALU_DEP_4)
	v_add_f32_e32 v46, v48, v46
	v_fma_f32 v48, 0xbeb58ec6, v101, -v70
	v_add_f32_e32 v38, v38, v49
	v_fmamk_f32 v49, v14, 0xbeb58ec6, v75
	v_dual_mul_f32 v96, 0x3f7e222b, v96 :: v_dual_add_f32 v95, v95, v97
	s_delay_alu instid0(VALU_DEP_4) | instskip(NEXT) | instid1(VALU_DEP_3)
	v_dual_add_f32 v47, v48, v47 :: v_dual_fmac_f32 v70, 0xbeb58ec6, v101
	v_add_f32_e32 v48, v49, v98
	v_fma_f32 v49, 0xbeb58ec6, v14, -v75
	s_delay_alu instid0(VALU_DEP_4) | instskip(SKIP_2) | instid1(VALU_DEP_4)
	v_fma_f32 v75, 0x3df6dbef, v101, -v96
	v_lshrrev_b32_e32 v97, 1, v54
	v_dual_add_f32 v70, v70, v93 :: v_dual_mul_f32 v3, 0x3f7e222b, v3
	v_add_f32_e32 v45, v49, v45
	s_delay_alu instid0(VALU_DEP_4) | instskip(NEXT) | instid1(VALU_DEP_4)
	v_add_f32_e32 v49, v75, v94
	v_mul_u32_u24_e32 v75, 26, v97
	v_lshrrev_b32_e32 v93, 1, v65
	v_fmamk_f32 v94, v14, 0x3df6dbef, v3
	v_fma_f32 v3, 0x3df6dbef, v14, -v3
	v_fmac_f32_e32 v102, 0xbf788fa5, v101
	v_or_b32_e32 v14, v75, v13
	v_mul_lo_u32 v75, v93, 26
	v_fmac_f32_e32 v96, 0x3df6dbef, v101
	v_add_f32_e32 v5, v3, v5
	v_add_f32_e32 v19, v102, v19
	v_lshl_add_u32 v93, v14, 2, 0
	ds_store_2addr_b32 v93, v2, v4 offset1:2
	ds_store_2addr_b32 v93, v77, v82 offset0:4 offset1:6
	ds_store_2addr_b32 v93, v86, v88 offset0:8 offset1:10
	v_or_b32_e32 v3, v75, v13
	v_add_f32_e32 v30, v96, v30
	v_add_f32_e32 v18, v94, v18
	s_delay_alu instid0(VALU_DEP_3)
	v_lshl_add_u32 v13, v3, 2, 0
	ds_store_2addr_b32 v93, v90, v91 offset0:12 offset1:14
	ds_store_2addr_b32 v93, v89, v87 offset0:16 offset1:18
	;; [unrolled: 1-line block ×3, first 2 shown]
	ds_store_b32 v93, v74 offset:96
	ds_store_2addr_b32 v13, v92, v15 offset1:2
	ds_store_2addr_b32 v13, v33, v16 offset0:4 offset1:6
	ds_store_2addr_b32 v13, v41, v47 offset0:8 offset1:10
	;; [unrolled: 1-line block ×5, first 2 shown]
	ds_store_b32 v13, v19 offset:96
	v_subrev_nc_u32_e32 v41, 26, v54
	v_mov_b32_e32 v16, 0
	global_wb scope:SCOPE_SE
	s_wait_dscnt 0x0
	s_barrier_signal -1
	s_barrier_wait -1
	s_wait_alu 0xf1ff
	v_cndmask_b32_e64 v14, v41, v54, s0
	global_inv scope:SCOPE_SE
	ds_load_2addr_b32 v[2:3], v40 offset1:156
	ds_load_b32 v77, v7
	ds_load_b32 v79, v10
	ds_load_b32 v81, v11
	ds_load_b32 v88, v12
	ds_load_2addr_b32 v[38:39], v34 offset0:164 offset1:216
	ds_load_2addr_b32 v[74:75], v36 offset0:12 offset1:64
	;; [unrolled: 1-line block ×8, first 2 shown]
	ds_load_b32 v89, v9
	ds_load_b32 v90, v8
	;; [unrolled: 1-line block ×3, first 2 shown]
	ds_load_b32 v92, v40 offset:5200
	global_wb scope:SCOPE_SE
	s_wait_dscnt 0x0
	s_barrier_signal -1
	v_mul_i32_i24_e32 v15, 12, v14
	s_barrier_wait -1
	global_inv scope:SCOPE_SE
	ds_store_2addr_b32 v93, v20, v51 offset1:2
	ds_store_2addr_b32 v93, v52, v71 offset0:4 offset1:6
	ds_store_2addr_b32 v93, v73, v78 offset0:8 offset1:10
	;; [unrolled: 1-line block ×5, first 2 shown]
	v_lshlrev_b64_e32 v[15:16], 3, v[15:16]
	ds_store_b32 v93, v50 offset:96
	ds_store_2addr_b32 v13, v84, v21 offset1:2
	ds_store_2addr_b32 v13, v31, v42 offset0:4 offset1:6
	ds_store_2addr_b32 v13, v46, v48 offset0:8 offset1:10
	;; [unrolled: 1-line block ×5, first 2 shown]
	ds_store_b32 v13, v17 offset:96
	global_wb scope:SCOPE_SE
	s_wait_dscnt 0x0
	s_barrier_signal -1
	s_barrier_wait -1
	v_add_co_u32 v19, s1, s4, v15
	s_wait_alu 0xf1ff
	v_add_co_ci_u32_e64 v20, s1, s5, v16, s1
	global_inv scope:SCOPE_SE
	s_clause 0x3
	global_load_b128 v[15:18], v[19:20], off offset:192
	global_load_b128 v[30:33], v[19:20], off offset:208
	;; [unrolled: 1-line block ×4, first 2 shown]
	v_and_b32_e32 v5, 0xff, v65
	s_clause 0x1
	global_load_b128 v[70:73], v[19:20], off offset:256
	global_load_b128 v[82:85], v[19:20], off offset:272
	v_cmp_lt_u32_e64 s1, 25, v54
	v_lshlrev_b32_e32 v14, 2, v14
	v_mul_lo_u16 v5, 0x4f, v5
	s_delay_alu instid0(VALU_DEP_1) | instskip(NEXT) | instid1(VALU_DEP_1)
	v_lshrrev_b16 v5, 11, v5
	v_mul_lo_u16 v13, v5, 26
	v_and_b32_e32 v5, 0xffff, v5
	s_delay_alu instid0(VALU_DEP_2) | instskip(NEXT) | instid1(VALU_DEP_2)
	v_sub_nc_u16 v13, v65, v13
	v_mul_u32_u24_e32 v5, 0x548, v5
	s_delay_alu instid0(VALU_DEP_2) | instskip(NEXT) | instid1(VALU_DEP_1)
	v_and_b32_e32 v13, 0xff, v13
	v_mul_u32_u24_e32 v21, 12, v13
	v_lshlrev_b32_e32 v13, 2, v13
	s_delay_alu instid0(VALU_DEP_2)
	v_lshlrev_b32_e32 v19, 3, v21
	s_clause 0x5
	global_load_b128 v[110:113], v19, s[4:5] offset:224
	global_load_b128 v[114:117], v19, s[4:5] offset:240
	;; [unrolled: 1-line block ×6, first 2 shown]
	ds_load_b32 v21, v8
	ds_load_b32 v50, v9
	;; [unrolled: 1-line block ×6, first 2 shown]
	ds_load_2addr_b32 v[10:11], v34 offset0:164 offset1:216
	ds_load_2addr_b32 v[19:20], v36 offset0:12 offset1:64
	ds_load_b32 v51, v35
	ds_load_2addr_b32 v[52:53], v36 offset0:116 offset1:168
	ds_load_2addr_b32 v[144:145], v37 offset0:172 offset1:224
	s_wait_loadcnt_dscnt 0xb0a
	v_mul_f32_e32 v80, v21, v16
	v_mul_f32_e32 v106, v90, v16
	s_wait_loadcnt 0xa
	v_mul_f32_e32 v98, v77, v31
	s_wait_dscnt 0x9
	v_dual_mul_f32 v94, v79, v33 :: v_dual_mul_f32 v91, v50, v18
	v_fma_f32 v107, v90, v15, -v80
	v_fmac_f32_e32 v106, v21, v15
	ds_load_2addr_b32 v[15:16], v22 offset0:92 offset1:144
	s_wait_dscnt 0x9
	v_mul_f32_e32 v21, v7, v31
	s_wait_dscnt 0x8
	v_dual_mul_f32 v31, v76, v33 :: v_dual_fmac_f32 v98, v7, v30
	s_wait_loadcnt_dscnt 0x707
	v_dual_mul_f32 v7, v78, v43 :: v_dual_mul_f32 v100, v135, v73
	v_fma_f32 v105, v89, v17, -v91
	s_delay_alu instid0(VALU_DEP_3) | instskip(SKIP_1) | instid1(VALU_DEP_4)
	v_fma_f32 v95, v79, v32, -v31
	v_mul_f32_e32 v79, v39, v47
	v_fma_f32 v90, v81, v42, -v7
	s_wait_dscnt 0x5
	v_mul_f32_e32 v7, v11, v47
	v_fma_f32 v99, v77, v30, -v21
	v_mul_f32_e32 v77, v88, v45
	v_fmac_f32_e32 v79, v11, v46
	s_wait_dscnt 0x2
	v_mul_f32_e32 v11, v53, v71
	v_dual_mul_f32 v96, v87, v71 :: v_dual_mul_f32 v21, v12, v45
	v_fmac_f32_e32 v94, v76, v32
	v_fmac_f32_e32 v77, v12, v44
	s_delay_alu instid0(VALU_DEP_4)
	v_fma_f32 v97, v87, v70, -v11
	s_wait_dscnt 0x0
	v_fmac_f32_e32 v100, v16, v72
	v_mul_f32_e32 v104, v89, v18
	v_mul_f32_e32 v89, v81, v43
	v_fma_f32 v81, v39, v46, -v7
	ds_load_2addr_b32 v[6:7], v6 offset0:84 offset1:188
	v_fmac_f32_e32 v96, v53, v70
	v_fmac_f32_e32 v104, v50, v17
	ds_load_2addr_b32 v[17:18], v37 offset0:68 offset1:120
	v_mul_f32_e32 v12, v20, v49
	v_mul_f32_e32 v91, v75, v49
	v_fmac_f32_e32 v89, v78, v42
	v_fma_f32 v78, v88, v44, -v21
	s_wait_loadcnt 0x5
	v_mul_f32_e32 v30, v38, v113
	v_fma_f32 v93, v75, v48, -v12
	v_mul_f32_e32 v12, v16, v73
	v_fmac_f32_e32 v91, v20, v48
	ds_load_2addr_b32 v[20:21], v40 offset1:156
	v_fmac_f32_e32 v30, v10, v112
	v_mul_f32_e32 v102, v139, v85
	v_fma_f32 v101, v135, v72, -v12
	v_mul_f32_e32 v12, v145, v85
	s_wait_loadcnt 0x4
	v_mul_f32_e32 v46, v86, v117
	s_wait_loadcnt 0x2
	v_mul_f32_e32 v50, v142, v125
	v_fmac_f32_e32 v102, v145, v84
	v_mul_f32_e32 v103, v137, v83
	v_fma_f32 v109, v139, v84, -v12
	s_wait_dscnt 0x2
	v_mul_f32_e32 v12, v7, v111
	s_wait_dscnt 0x1
	v_dual_mul_f32 v11, v18, v83 :: v_dual_fmac_f32 v46, v52, v116
	v_fmac_f32_e32 v50, v6, v124
	v_mul_f32_e32 v16, v19, v115
	v_fma_f32 v39, v143, v110, -v12
	s_delay_alu instid0(VALU_DEP_4)
	v_fma_f32 v108, v137, v82, -v11
	v_dual_mul_f32 v11, v10, v113 :: v_dual_mul_f32 v10, v15, v119
	v_mul_f32_e32 v48, v134, v119
	v_mul_f32_e32 v71, v141, v123
	s_wait_loadcnt 0x1
	v_mul_f32_e32 v73, v140, v129
	v_fma_f32 v31, v38, v112, -v11
	ds_load_2addr_b32 v[11:12], v28 offset0:4 offset1:108
	v_mul_f32_e32 v38, v143, v111
	v_fma_f32 v49, v134, v118, -v10
	ds_load_b32 v10, v40 offset:5200
	v_mul_f32_e32 v83, v3, v127
	v_fma_f32 v33, v74, v114, -v16
	v_dual_fmac_f32 v38, v7, v110 :: v_dual_mul_f32 v7, v52, v117
	v_mul_f32_e32 v16, v17, v121
	v_fmac_f32_e32 v48, v15, v118
	v_fmac_f32_e32 v103, v18, v82
	v_mul_f32_e32 v32, v74, v115
	v_fma_f32 v47, v86, v116, -v7
	v_mul_f32_e32 v7, v6, v125
	s_wait_loadcnt 0x0
	v_mul_f32_e32 v86, v92, v133
	v_fma_f32 v70, v136, v120, -v16
	v_mul_f32_e32 v53, v136, v121
	s_wait_dscnt 0x2
	v_fmac_f32_e32 v83, v21, v126
	v_fma_f32 v52, v142, v124, -v7
	s_wait_dscnt 0x1
	v_dual_mul_f32 v7, v21, v127 :: v_dual_mul_f32 v6, v11, v129
	v_mul_f32_e32 v15, v12, v123
	v_fmac_f32_e32 v71, v12, v122
	v_mul_f32_e32 v12, v144, v131
	s_delay_alu instid0(VALU_DEP_4)
	v_fma_f32 v84, v3, v126, -v7
	v_fma_f32 v75, v140, v128, -v6
	v_sub_f32_e32 v3, v106, v102
	s_wait_dscnt 0x0
	v_dual_mul_f32 v6, v10, v133 :: v_dual_fmac_f32 v73, v11, v128
	v_add_f32_e32 v7, v107, v109
	v_fma_f32 v72, v141, v122, -v15
	v_mul_f32_e32 v11, 0xbeedf032, v3
	s_delay_alu instid0(VALU_DEP_4)
	v_fma_f32 v87, v92, v132, -v6
	v_mul_f32_e32 v6, 0xbf52af12, v3
	v_fma_f32 v21, v138, v130, -v12
	v_fmac_f32_e32 v86, v10, v132
	v_fma_f32 v10, 0x3f62ad3f, v7, -v11
	v_mul_f32_e32 v12, 0xbf7e222b, v3
	v_fmac_f32_e32 v11, 0x3f62ad3f, v7
	v_fma_f32 v15, 0x3f116cb1, v7, -v6
	v_mul_f32_e32 v16, 0xbf6f5d39, v3
	v_mul_f32_e32 v18, 0xbf29c268, v3
	v_dual_mul_f32 v3, 0xbe750f2a, v3 :: v_dual_fmac_f32 v32, v19, v114
	v_dual_fmac_f32 v53, v17, v120 :: v_dual_fmac_f32 v6, 0x3f116cb1, v7
	v_fma_f32 v17, 0x3df6dbef, v7, -v12
	v_fmac_f32_e32 v12, 0x3df6dbef, v7
	v_fma_f32 v19, 0xbeb58ec6, v7, -v16
	v_fmac_f32_e32 v16, 0xbeb58ec6, v7
	;; [unrolled: 2-line block ×4, first 2 shown]
	v_add_f32_e32 v7, v2, v10
	v_add_f32_e32 v10, v2, v11
	;; [unrolled: 1-line block ×3, first 2 shown]
	v_dual_sub_f32 v15, v104, v103 :: v_dual_add_f32 v44, v105, v108
	v_add_f32_e32 v12, v2, v12
	v_add_f32_e32 v17, v2, v17
	v_add_f32_e32 v19, v2, v19
	s_delay_alu instid0(VALU_DEP_4)
	v_mul_f32_e32 v45, 0xbf52af12, v15
	v_mul_f32_e32 v76, 0xbf6f5d39, v15
	v_mul_f32_e32 v82, 0x3f29c268, v15
	v_add_f32_e32 v43, v2, v43
	v_add_f32_e32 v6, v2, v6
	v_fma_f32 v74, 0x3f116cb1, v44, -v45
	v_dual_fmac_f32 v45, 0x3f116cb1, v44 :: v_dual_add_f32 v18, v2, v18
	v_add_f32_e32 v88, v99, v101
	v_add_f32_e32 v42, v2, v42
	s_delay_alu instid0(VALU_DEP_4) | instskip(SKIP_4) | instid1(VALU_DEP_4)
	v_add_f32_e32 v7, v74, v7
	v_mul_f32_e32 v74, 0xbe750f2a, v15
	v_add_f32_e32 v10, v45, v10
	v_fma_f32 v45, 0xbeb58ec6, v44, -v76
	v_dual_fmac_f32 v76, 0xbeb58ec6, v44 :: v_dual_add_f32 v3, v2, v3
	v_fma_f32 v85, 0xbf788fa5, v44, -v74
	s_delay_alu instid0(VALU_DEP_3) | instskip(SKIP_1) | instid1(VALU_DEP_3)
	v_dual_fmac_f32 v74, 0xbf788fa5, v44 :: v_dual_add_f32 v11, v45, v11
	v_fma_f32 v45, 0xbf3f9e67, v44, -v82
	v_dual_add_f32 v6, v76, v6 :: v_dual_add_f32 v17, v85, v17
	s_delay_alu instid0(VALU_DEP_3) | instskip(SKIP_4) | instid1(VALU_DEP_4)
	v_add_f32_e32 v12, v74, v12
	v_mul_f32_e32 v74, 0x3f7e222b, v15
	v_mul_f32_e32 v15, 0x3eedf032, v15
	v_dual_add_f32 v19, v45, v19 :: v_dual_fmac_f32 v82, 0xbf3f9e67, v44
	v_add_f32_e32 v16, v2, v16
	v_fma_f32 v76, 0x3df6dbef, v44, -v74
	s_delay_alu instid0(VALU_DEP_4) | instskip(SKIP_3) | instid1(VALU_DEP_4)
	v_fma_f32 v85, 0x3f62ad3f, v44, -v15
	v_fmac_f32_e32 v74, 0x3df6dbef, v44
	v_fmac_f32_e32 v15, 0x3f62ad3f, v44
	v_add_f32_e32 v16, v82, v16
	v_dual_add_f32 v42, v76, v42 :: v_dual_add_f32 v43, v85, v43
	v_add_f32_e32 v85, v95, v97
	v_sub_f32_e32 v45, v98, v100
	v_dual_add_f32 v18, v74, v18 :: v_dual_add_f32 v3, v15, v3
	v_add_f32_e32 v2, v2, v107
	v_add3_u32 v112, 0, v5, v13
	s_delay_alu instid0(VALU_DEP_4)
	v_mul_f32_e32 v92, 0xbf7e222b, v45
	v_mul_f32_e32 v74, 0xbe750f2a, v45
	;; [unrolled: 1-line block ×4, first 2 shown]
	v_dual_add_f32 v2, v2, v105 :: v_dual_add_nc_u32 v115, 0x400, v112
	v_fma_f32 v44, 0x3df6dbef, v88, -v92
	s_delay_alu instid0(VALU_DEP_4)
	v_fma_f32 v82, 0xbeb58ec6, v88, -v15
	v_fmac_f32_e32 v15, 0xbeb58ec6, v88
	v_fmac_f32_e32 v92, 0x3df6dbef, v88
	v_add_f32_e32 v2, v2, v99
	v_add_f32_e32 v7, v44, v7
	v_fma_f32 v44, 0xbf788fa5, v88, -v74
	v_dual_fmac_f32 v74, 0xbf788fa5, v88 :: v_dual_add_f32 v17, v82, v17
	v_dual_add_f32 v12, v15, v12 :: v_dual_mul_f32 v15, 0xbf52af12, v45
	s_delay_alu instid0(VALU_DEP_3)
	v_add_f32_e32 v11, v44, v11
	v_fma_f32 v44, 0x3f62ad3f, v88, -v76
	v_add_f32_e32 v10, v92, v10
	v_add_f32_e32 v6, v74, v6
	v_fma_f32 v74, 0x3f116cb1, v88, -v15
	v_fmac_f32_e32 v15, 0x3f116cb1, v88
	v_dual_add_f32 v19, v44, v19 :: v_dual_mul_f32 v44, 0xbf29c268, v45
	v_sub_f32_e32 v45, v94, v96
	v_fmac_f32_e32 v76, 0x3f62ad3f, v88
	v_add_f32_e32 v42, v74, v42
	v_add_f32_e32 v15, v15, v18
	v_fma_f32 v82, 0xbf3f9e67, v88, -v44
	v_mul_f32_e32 v92, 0xbf6f5d39, v45
	v_fmac_f32_e32 v44, 0xbf3f9e67, v88
	v_mul_f32_e32 v74, 0x3f29c268, v45
	v_add_f32_e32 v16, v76, v16
	v_mul_f32_e32 v76, 0xbf7e222b, v45
	v_fma_f32 v18, 0xbeb58ec6, v85, -v92
	v_add_f32_e32 v3, v44, v3
	v_fma_f32 v44, 0xbf3f9e67, v85, -v74
	v_dual_add_f32 v43, v82, v43 :: v_dual_fmac_f32 v92, 0xbeb58ec6, v85
	s_delay_alu instid0(VALU_DEP_4) | instskip(NEXT) | instid1(VALU_DEP_3)
	v_dual_add_f32 v7, v18, v7 :: v_dual_mul_f32 v18, 0x3eedf032, v45
	v_add_f32_e32 v11, v44, v11
	v_fma_f32 v44, 0x3df6dbef, v85, -v76
	v_fmac_f32_e32 v74, 0xbf3f9e67, v85
	v_add_f32_e32 v10, v92, v10
	v_fma_f32 v82, 0x3f62ad3f, v85, -v18
	s_delay_alu instid0(VALU_DEP_4) | instskip(SKIP_3) | instid1(VALU_DEP_4)
	v_dual_fmac_f32 v18, 0x3f62ad3f, v85 :: v_dual_add_f32 v19, v44, v19
	v_mul_f32_e32 v44, 0x3f52af12, v45
	v_add_f32_e32 v6, v74, v6
	v_add_f32_e32 v88, v90, v93
	;; [unrolled: 1-line block ×3, first 2 shown]
	v_dual_mul_f32 v18, 0x3e750f2a, v45 :: v_dual_sub_f32 v45, v89, v91
	v_add_f32_e32 v17, v82, v17
	v_fma_f32 v82, 0x3f116cb1, v85, -v44
	v_fmac_f32_e32 v76, 0x3df6dbef, v85
	s_delay_alu instid0(VALU_DEP_4) | instskip(SKIP_1) | instid1(VALU_DEP_4)
	v_fma_f32 v74, 0xbf788fa5, v85, -v18
	v_fmac_f32_e32 v18, 0xbf788fa5, v85
	v_dual_mul_f32 v92, 0xbf29c268, v45 :: v_dual_add_f32 v43, v82, v43
	v_fmac_f32_e32 v44, 0x3f116cb1, v85
	s_delay_alu instid0(VALU_DEP_4) | instskip(NEXT) | instid1(VALU_DEP_4)
	v_add_f32_e32 v42, v74, v42
	v_add_f32_e32 v15, v18, v15
	s_delay_alu instid0(VALU_DEP_4) | instskip(SKIP_3) | instid1(VALU_DEP_4)
	v_fma_f32 v18, 0xbf3f9e67, v88, -v92
	v_mul_f32_e32 v74, 0x3f7e222b, v45
	v_add_f32_e32 v16, v76, v16
	v_dual_add_f32 v3, v44, v3 :: v_dual_mul_f32 v76, 0x3e750f2a, v45
	v_dual_add_f32 v7, v18, v7 :: v_dual_mul_f32 v18, 0xbf52af12, v45
	s_delay_alu instid0(VALU_DEP_4) | instskip(SKIP_2) | instid1(VALU_DEP_4)
	v_fma_f32 v44, 0x3df6dbef, v88, -v74
	v_fmac_f32_e32 v74, 0x3df6dbef, v88
	v_dual_fmac_f32 v92, 0xbf3f9e67, v88 :: v_dual_add_f32 v85, v78, v81
	v_fma_f32 v82, 0x3f116cb1, v88, -v18
	s_delay_alu instid0(VALU_DEP_4) | instskip(SKIP_3) | instid1(VALU_DEP_4)
	v_dual_fmac_f32 v18, 0x3f116cb1, v88 :: v_dual_add_f32 v11, v44, v11
	v_fma_f32 v44, 0xbf788fa5, v88, -v76
	v_add_f32_e32 v6, v74, v6
	v_mul_f32_e32 v74, 0x3eedf032, v45
	v_add_f32_e32 v12, v18, v12
	s_delay_alu instid0(VALU_DEP_4) | instskip(SKIP_4) | instid1(VALU_DEP_4)
	v_dual_add_f32 v17, v82, v17 :: v_dual_add_f32 v18, v44, v19
	v_mul_f32_e32 v19, 0xbf6f5d39, v45
	v_dual_sub_f32 v45, v77, v79 :: v_dual_fmac_f32 v76, 0xbf788fa5, v88
	v_fma_f32 v44, 0x3f62ad3f, v88, -v74
	v_fmac_f32_e32 v74, 0x3f62ad3f, v88
	v_fma_f32 v82, 0xbeb58ec6, v88, -v19
	v_fmac_f32_e32 v19, 0xbeb58ec6, v88
	v_mul_f32_e32 v88, 0xbe750f2a, v45
	v_add_f32_e32 v2, v2, v95
	v_dual_add_f32 v42, v44, v42 :: v_dual_add_f32 v15, v74, v15
	v_mul_f32_e32 v74, 0x3eedf032, v45
	s_delay_alu instid0(VALU_DEP_4) | instskip(NEXT) | instid1(VALU_DEP_4)
	v_fma_f32 v44, 0xbf788fa5, v85, -v88
	v_add_f32_e32 v2, v2, v90
	v_add_f32_e32 v10, v92, v10
	v_dual_add_f32 v16, v76, v16 :: v_dual_add_f32 v3, v19, v3
	s_delay_alu instid0(VALU_DEP_4)
	v_dual_add_f32 v7, v44, v7 :: v_dual_fmac_f32 v88, 0xbf788fa5, v85
	v_fma_f32 v19, 0x3f62ad3f, v85, -v74
	v_mul_f32_e32 v44, 0xbf29c268, v45
	v_add_f32_e32 v76, v2, v78
	v_fmac_f32_e32 v74, 0x3f62ad3f, v85
	v_add_f32_e32 v2, v88, v10
	v_add_f32_e32 v10, v19, v11
	v_fma_f32 v11, 0xbf3f9e67, v85, -v44
	v_dual_add_f32 v19, v76, v81 :: v_dual_mul_f32 v80, v138, v131
	v_add_f32_e32 v6, v74, v6
	v_mul_f32_e32 v74, 0x3f52af12, v45
	s_delay_alu instid0(VALU_DEP_4) | instskip(NEXT) | instid1(VALU_DEP_4)
	v_add_f32_e32 v11, v11, v17
	v_dual_add_f32 v17, v19, v93 :: v_dual_fmac_f32 v80, v144, v130
	v_mul_f32_e32 v19, 0xbf6f5d39, v45
	s_delay_alu instid0(VALU_DEP_4) | instskip(SKIP_1) | instid1(VALU_DEP_4)
	v_fma_f32 v76, 0x3f116cb1, v85, -v74
	v_fmac_f32_e32 v74, 0x3f116cb1, v85
	v_add_f32_e32 v17, v17, v97
	v_fmac_f32_e32 v44, 0xbf3f9e67, v85
	v_mul_f32_e32 v45, 0x3f7e222b, v45
	v_add_f32_e32 v43, v82, v43
	s_delay_alu instid0(VALU_DEP_4)
	v_dual_add_f32 v16, v74, v16 :: v_dual_add_f32 v17, v17, v101
	s_wait_alu 0xf1ff
	v_cndmask_b32_e64 v74, 0, 0x548, s1
	v_add_f32_e32 v12, v44, v12
	v_fma_f32 v44, 0xbeb58ec6, v85, -v19
	v_fmac_f32_e32 v19, 0xbeb58ec6, v85
	v_add_f32_e32 v17, v17, v108
	v_add3_u32 v110, 0, v74, v14
	v_sub_f32_e32 v14, v83, v86
	v_add_f32_e32 v42, v44, v42
	v_fma_f32 v44, 0x3df6dbef, v85, -v45
	v_fmac_f32_e32 v45, 0x3df6dbef, v85
	v_add_f32_e32 v17, v17, v109
	v_add_nc_u32_e32 v111, 0x400, v110
	v_dual_add_f32 v18, v76, v18 :: v_dual_add_f32 v15, v19, v15
	v_add_f32_e32 v19, v44, v43
	v_add_f32_e32 v3, v45, v3
	global_wb scope:SCOPE_SE
	s_barrier_signal -1
	s_barrier_wait -1
	v_dual_add_f32 v43, v84, v87 :: v_dual_mul_f32 v44, 0xbeedf032, v14
	global_inv scope:SCOPE_SE
	ds_store_2addr_b32 v110, v17, v7 offset1:26
	ds_store_2addr_b32 v110, v10, v11 offset0:52 offset1:78
	ds_store_2addr_b32 v111, v12, v6 offset0:4 offset1:30
	v_dual_sub_f32 v12, v73, v80 :: v_dual_mul_f32 v7, 0xbf52af12, v14
	v_fma_f32 v10, 0x3f62ad3f, v43, -v44
	ds_store_2addr_b32 v110, v18, v42 offset0:104 offset1:130
	v_mul_f32_e32 v11, 0xbf7e222b, v14
	ds_store_2addr_b32 v110, v19, v3 offset0:156 offset1:182
	ds_store_2addr_b32 v110, v15, v16 offset0:208 offset1:234
	v_mul_f32_e32 v15, 0xbf6f5d39, v14
	v_mul_f32_e32 v16, 0xbf29c268, v14
	v_dual_mul_f32 v14, 0xbe750f2a, v14 :: v_dual_add_f32 v19, v75, v21
	v_mul_f32_e32 v42, 0xbf52af12, v12
	v_fmac_f32_e32 v44, 0x3f62ad3f, v43
	v_fma_f32 v17, 0x3f116cb1, v43, -v7
	v_fmac_f32_e32 v7, 0x3f116cb1, v43
	v_fma_f32 v3, 0x3df6dbef, v43, -v11
	;; [unrolled: 2-line block ×5, first 2 shown]
	v_fmac_f32_e32 v14, 0xbf788fa5, v43
	v_dual_add_f32 v10, v4, v10 :: v_dual_mul_f32 v43, 0xbf6f5d39, v12
	v_fma_f32 v74, 0x3f116cb1, v19, -v42
	v_add_f32_e32 v44, v4, v44
	v_fmac_f32_e32 v42, 0x3f116cb1, v19
	v_add_f32_e32 v7, v4, v7
	v_fma_f32 v76, 0xbeb58ec6, v19, -v43
	v_dual_fmac_f32 v43, 0xbeb58ec6, v19 :: v_dual_add_f32 v10, v74, v10
	v_dual_mul_f32 v74, 0xbe750f2a, v12 :: v_dual_add_f32 v17, v4, v17
	s_delay_alu instid0(VALU_DEP_2) | instskip(SKIP_1) | instid1(VALU_DEP_3)
	v_dual_add_f32 v42, v42, v44 :: v_dual_add_f32 v7, v43, v7
	v_add_f32_e32 v3, v4, v3
	v_fma_f32 v43, 0xbf788fa5, v19, -v74
	s_delay_alu instid0(VALU_DEP_4) | instskip(SKIP_3) | instid1(VALU_DEP_4)
	v_dual_mul_f32 v44, 0x3f29c268, v12 :: v_dual_add_f32 v17, v76, v17
	v_add_f32_e32 v11, v4, v11
	v_fmac_f32_e32 v74, 0xbf788fa5, v19
	v_mul_f32_e32 v76, 0x3f7e222b, v12
	v_fma_f32 v82, 0xbf3f9e67, v19, -v44
	v_add_f32_e32 v15, v4, v15
	v_fmac_f32_e32 v44, 0xbf3f9e67, v19
	v_add_f32_e32 v3, v43, v3
	v_dual_sub_f32 v43, v71, v53 :: v_dual_add_f32 v6, v4, v6
	v_fma_f32 v85, 0x3df6dbef, v19, -v76
	v_add_f32_e32 v11, v74, v11
	v_add_f32_e32 v15, v44, v15
	;; [unrolled: 1-line block ×3, first 2 shown]
	v_mul_f32_e32 v12, 0x3eedf032, v12
	v_fmac_f32_e32 v76, 0x3df6dbef, v19
	v_add_f32_e32 v44, v4, v45
	v_dual_add_f32 v45, v72, v70 :: v_dual_mul_f32 v74, 0xbf7e222b, v43
	v_add_f32_e32 v6, v82, v6
	v_fma_f32 v82, 0x3f62ad3f, v19, -v12
	v_add_f32_e32 v16, v76, v16
	v_fmac_f32_e32 v12, 0x3f62ad3f, v19
	v_add_f32_e32 v14, v4, v14
	v_fma_f32 v19, 0x3df6dbef, v45, -v74
	v_fmac_f32_e32 v74, 0x3df6dbef, v45
	v_mul_f32_e32 v76, 0xbe750f2a, v43
	v_add_f32_e32 v44, v82, v44
	v_add_f32_e32 v12, v12, v14
	;; [unrolled: 1-line block ×3, first 2 shown]
	v_dual_mul_f32 v14, 0x3f6f5d39, v43 :: v_dual_add_f32 v19, v74, v42
	v_fma_f32 v42, 0xbf788fa5, v45, -v76
	v_mul_f32_e32 v74, 0x3eedf032, v43
	v_add_f32_e32 v18, v4, v18
	s_delay_alu instid0(VALU_DEP_4) | instskip(SKIP_4) | instid1(VALU_DEP_4)
	v_fma_f32 v82, 0xbeb58ec6, v45, -v14
	v_fmac_f32_e32 v14, 0xbeb58ec6, v45
	v_add_f32_e32 v17, v42, v17
	v_fma_f32 v42, 0x3f62ad3f, v45, -v74
	v_fmac_f32_e32 v76, 0xbf788fa5, v45
	v_dual_add_f32 v18, v85, v18 :: v_dual_add_f32 v11, v14, v11
	v_mul_f32_e32 v14, 0xbf52af12, v43
	s_delay_alu instid0(VALU_DEP_4) | instskip(SKIP_2) | instid1(VALU_DEP_4)
	v_add_f32_e32 v6, v42, v6
	v_dual_mul_f32 v42, 0xbf29c268, v43 :: v_dual_sub_f32 v43, v50, v48
	v_add_f32_e32 v7, v76, v7
	v_fma_f32 v76, 0x3f116cb1, v45, -v14
	v_fmac_f32_e32 v14, 0x3f116cb1, v45
	s_delay_alu instid0(VALU_DEP_4)
	v_dual_add_f32 v85, v52, v49 :: v_dual_mul_f32 v88, 0xbf6f5d39, v43
	v_dual_add_f32 v3, v82, v3 :: v_dual_fmac_f32 v74, 0x3f62ad3f, v45
	v_fma_f32 v82, 0xbf3f9e67, v45, -v42
	v_fmac_f32_e32 v42, 0xbf3f9e67, v45
	v_add_f32_e32 v14, v14, v16
	v_fma_f32 v16, 0xbeb58ec6, v85, -v88
	v_mul_f32_e32 v45, 0x3f29c268, v43
	v_add_f32_e32 v15, v74, v15
	v_add_f32_e32 v12, v42, v12
	v_mul_f32_e32 v74, 0xbf7e222b, v43
	v_add_f32_e32 v10, v16, v10
	v_mul_f32_e32 v16, 0x3eedf032, v43
	v_fma_f32 v42, 0xbf3f9e67, v85, -v45
	v_add_f32_e32 v18, v76, v18
	v_fmac_f32_e32 v88, 0xbeb58ec6, v85
	v_fmac_f32_e32 v45, 0xbf3f9e67, v85
	v_fma_f32 v76, 0x3f62ad3f, v85, -v16
	v_fmac_f32_e32 v16, 0x3f62ad3f, v85
	v_add_f32_e32 v17, v42, v17
	v_fma_f32 v42, 0x3df6dbef, v85, -v74
	v_dual_add_f32 v44, v82, v44 :: v_dual_add_f32 v19, v88, v19
	s_delay_alu instid0(VALU_DEP_4) | instskip(SKIP_1) | instid1(VALU_DEP_4)
	v_add_f32_e32 v11, v16, v11
	v_mul_f32_e32 v16, 0x3e750f2a, v43
	v_add_f32_e32 v6, v42, v6
	v_dual_mul_f32 v42, 0x3f52af12, v43 :: v_dual_sub_f32 v43, v38, v46
	v_add_f32_e32 v7, v45, v7
	s_delay_alu instid0(VALU_DEP_4)
	v_fma_f32 v45, 0xbf788fa5, v85, -v16
	v_fmac_f32_e32 v16, 0xbf788fa5, v85
	v_add_f32_e32 v82, v39, v47
	v_mul_f32_e32 v88, 0xbf29c268, v43
	v_dual_add_f32 v3, v76, v3 :: v_dual_fmac_f32 v74, 0x3df6dbef, v85
	v_fma_f32 v76, 0x3f116cb1, v85, -v42
	v_fmac_f32_e32 v42, 0x3f116cb1, v85
	v_add_f32_e32 v18, v45, v18
	v_add_f32_e32 v14, v16, v14
	v_fma_f32 v16, 0xbf3f9e67, v82, -v88
	v_dual_mul_f32 v45, 0x3f7e222b, v43 :: v_dual_add_f32 v4, v4, v84
	v_add_f32_e32 v15, v74, v15
	v_add_f32_e32 v12, v42, v12
	s_delay_alu instid0(VALU_DEP_4)
	v_add_f32_e32 v10, v16, v10
	v_mul_f32_e32 v16, 0xbf52af12, v43
	v_fma_f32 v42, 0x3df6dbef, v82, -v45
	v_mul_f32_e32 v74, 0x3e750f2a, v43
	v_add_f32_e32 v4, v4, v75
	v_dual_add_f32 v44, v76, v44 :: v_dual_fmac_f32 v45, 0x3df6dbef, v82
	v_fma_f32 v76, 0x3f116cb1, v82, -v16
	v_dual_fmac_f32 v16, 0x3f116cb1, v82 :: v_dual_add_f32 v17, v42, v17
	v_fma_f32 v42, 0xbf788fa5, v82, -v74
	s_delay_alu instid0(VALU_DEP_4) | instskip(NEXT) | instid1(VALU_DEP_3)
	v_dual_add_f32 v4, v4, v72 :: v_dual_add_f32 v7, v45, v7
	v_add_f32_e32 v11, v16, v11
	v_mul_f32_e32 v16, 0x3eedf032, v43
	s_delay_alu instid0(VALU_DEP_4)
	v_add_f32_e32 v6, v42, v6
	v_dual_mul_f32 v42, 0xbf6f5d39, v43 :: v_dual_sub_f32 v45, v30, v32
	v_add_f32_e32 v4, v4, v52
	v_dual_fmac_f32 v88, 0xbf3f9e67, v82 :: v_dual_add_f32 v3, v76, v3
	v_fmac_f32_e32 v74, 0xbf788fa5, v82
	v_fma_f32 v43, 0x3f62ad3f, v82, -v16
	v_fmac_f32_e32 v16, 0x3f62ad3f, v82
	v_fma_f32 v76, 0xbeb58ec6, v82, -v42
	v_fmac_f32_e32 v42, 0xbeb58ec6, v82
	v_add_f32_e32 v82, v31, v33
	v_dual_mul_f32 v85, 0xbe750f2a, v45 :: v_dual_add_f32 v4, v4, v39
	v_dual_add_f32 v15, v74, v15 :: v_dual_add_f32 v14, v16, v14
	v_mul_f32_e32 v74, 0x3eedf032, v45
	s_delay_alu instid0(VALU_DEP_3) | instskip(NEXT) | instid1(VALU_DEP_4)
	v_fma_f32 v16, 0xbf788fa5, v82, -v85
	v_add_f32_e32 v4, v4, v31
	v_add_f32_e32 v44, v76, v44
	v_dual_mul_f32 v76, 0xbf29c268, v45 :: v_dual_add_f32 v19, v88, v19
	s_delay_alu instid0(VALU_DEP_4) | instskip(SKIP_4) | instid1(VALU_DEP_4)
	v_add_f32_e32 v10, v16, v10
	v_fma_f32 v16, 0x3f62ad3f, v82, -v74
	v_add_f32_e32 v4, v4, v33
	v_fmac_f32_e32 v74, 0x3f62ad3f, v82
	v_dual_add_f32 v12, v42, v12 :: v_dual_fmac_f32 v85, 0xbf788fa5, v82
	v_add_f32_e32 v16, v16, v17
	v_fma_f32 v17, 0xbf3f9e67, v82, -v76
	v_add_f32_e32 v4, v4, v47
	v_dual_add_f32 v42, v74, v7 :: v_dual_mul_f32 v7, 0x3f52af12, v45
	s_delay_alu instid0(VALU_DEP_3) | instskip(SKIP_1) | instid1(VALU_DEP_4)
	v_dual_add_f32 v18, v43, v18 :: v_dual_add_f32 v3, v17, v3
	v_mul_f32_e32 v17, 0xbf6f5d39, v45
	v_dual_add_f32 v4, v4, v49 :: v_dual_add_f32 v43, v85, v19
	s_delay_alu instid0(VALU_DEP_4) | instskip(SKIP_1) | instid1(VALU_DEP_4)
	v_fma_f32 v19, 0x3f116cb1, v82, -v7
	v_fmac_f32_e32 v7, 0x3f116cb1, v82
	v_fma_f32 v74, 0xbeb58ec6, v82, -v17
	s_delay_alu instid0(VALU_DEP_4)
	v_add_f32_e32 v4, v4, v70
	v_fmac_f32_e32 v17, 0xbeb58ec6, v82
	v_add_f32_e32 v6, v19, v6
	v_add_f32_e32 v7, v7, v15
	v_dual_add_f32 v15, v74, v18 :: v_dual_mul_f32 v18, 0x3f7e222b, v45
	v_add_f32_e32 v4, v4, v21
	v_fmac_f32_e32 v76, 0xbf3f9e67, v82
	v_lshl_add_u32 v113, v67, 2, 0
	v_add_f32_e32 v5, v17, v14
	v_fma_f32 v19, 0x3df6dbef, v82, -v18
	v_fmac_f32_e32 v18, 0x3df6dbef, v82
	v_add_f32_e32 v4, v4, v87
	v_add_f32_e32 v11, v76, v11
	ds_store_b32 v110, v2 offset:1248
	ds_store_2addr_b32 v112, v4, v10 offset1:26
	v_add_f32_e32 v13, v19, v44
	v_add_f32_e32 v12, v18, v12
	ds_store_2addr_b32 v112, v16, v3 offset0:52 offset1:78
	ds_store_2addr_b32 v112, v6, v15 offset0:104 offset1:130
	;; [unrolled: 1-line block ×5, first 2 shown]
	ds_store_b32 v112, v43 offset:1248
	global_wb scope:SCOPE_SE
	s_wait_dscnt 0x0
	s_barrier_signal -1
	s_barrier_wait -1
	global_inv scope:SCOPE_SE
	ds_load_2addr_b32 v[4:5], v28 offset0:82 offset1:134
	ds_load_2addr_b32 v[2:3], v34 offset0:164 offset1:216
	;; [unrolled: 1-line block ×3, first 2 shown]
	v_lshl_add_u32 v114, v69, 2, 0
	ds_load_b32 v92, v40
	ds_load_b32 v74, v35
	;; [unrolled: 1-line block ×6, first 2 shown]
	ds_load_2addr_b32 v[10:11], v28 offset0:186 offset1:238
	ds_load_2addr_b32 v[8:9], v36 offset0:12 offset1:64
	;; [unrolled: 1-line block ×6, first 2 shown]
	v_sub_nc_u32_e32 v44, 0, v29
	v_sub_nc_u32_e32 v29, 0, v24
	;; [unrolled: 1-line block ×3, first 2 shown]
                                        ; implicit-def: $vgpr45
	s_delay_alu instid0(VALU_DEP_3)
	v_add_nc_u32_e32 v116, v23, v44
                                        ; implicit-def: $vgpr44
	s_and_saveexec_b32 s1, s0
	s_cbranch_execz .LBB0_15
; %bb.14:
	ds_load_b32 v43, v40 offset:2600
	ds_load_b32 v44, v40 offset:3952
	ds_load_b32 v42, v116
	ds_load_b32 v45, v40 offset:5304
.LBB0_15:
	s_wait_alu 0xfffe
	s_or_b32 exec_lo, exec_lo, s1
	v_dual_add_f32 v23, v20, v106 :: v_dual_sub_f32 v24, v107, v109
	v_dual_add_f32 v25, v106, v102 :: v_dual_add_f32 v106, v104, v103
	v_sub_f32_e32 v95, v95, v97
	v_sub_f32_e32 v21, v75, v21
	s_delay_alu instid0(VALU_DEP_4) | instskip(SKIP_3) | instid1(VALU_DEP_4)
	v_mul_f32_e32 v109, 0xbf6f5d39, v24
	v_sub_f32_e32 v31, v31, v33
	v_sub_f32_e32 v49, v52, v49
	;; [unrolled: 1-line block ×3, first 2 shown]
	v_dual_fmamk_f32 v126, v25, 0xbeb58ec6, v109 :: v_dual_add_nc_u32 v27, v27, v117
	v_sub_f32_e32 v105, v105, v108
	v_fma_f32 v109, 0xbeb58ec6, v25, -v109
	s_delay_alu instid0(VALU_DEP_4)
	v_mul_f32_e32 v33, 0xbf6f5d39, v39
	global_wb scope:SCOPE_SE
	s_wait_dscnt 0x0
	v_dual_add_f32 v126, v20, v126 :: v_dual_add_f32 v23, v23, v104
	v_mul_f32_e32 v120, 0xbf6f5d39, v105
	v_mul_f32_e32 v104, 0xbeedf032, v24
	s_barrier_signal -1
	s_barrier_wait -1
	v_dual_add_f32 v23, v23, v98 :: v_dual_mul_f32 v108, 0xbf7e222b, v24
	global_inv scope:SCOPE_SE
	v_dual_mul_f32 v121, 0xbe750f2a, v105 :: v_dual_add_f32 v98, v98, v100
	v_dual_add_f32 v23, v23, v94 :: v_dual_mul_f32 v118, 0xbf29c268, v24
	v_fmamk_f32 v125, v25, 0x3df6dbef, v108
	v_fma_f32 v108, 0x3df6dbef, v25, -v108
	v_sub_f32_e32 v99, v99, v101
	s_delay_alu instid0(VALU_DEP_4) | instskip(SKIP_3) | instid1(VALU_DEP_4)
	v_add_f32_e32 v23, v23, v89
	v_fmamk_f32 v127, v25, 0xbf3f9e67, v118
	v_fma_f32 v118, 0xbf3f9e67, v25, -v118
	v_mul_f32_e32 v107, 0xbf52af12, v24
	v_dual_mul_f32 v24, 0xbe750f2a, v24 :: v_dual_add_f32 v23, v23, v77
	v_mul_f32_e32 v122, 0x3f29c268, v105
	s_delay_alu instid0(VALU_DEP_4) | instskip(NEXT) | instid1(VALU_DEP_4)
	v_add_f32_e32 v118, v20, v118
	v_fmamk_f32 v124, v25, 0x3f116cb1, v107
	v_fmamk_f32 v123, v25, 0x3f62ad3f, v104
	v_add_f32_e32 v23, v23, v79
	v_fma_f32 v104, 0x3f62ad3f, v25, -v104
	v_mul_f32_e32 v119, 0xbf52af12, v105
	v_fma_f32 v107, 0x3f116cb1, v25, -v107
	s_delay_alu instid0(VALU_DEP_4) | instskip(NEXT) | instid1(VALU_DEP_4)
	v_dual_add_f32 v124, v20, v124 :: v_dual_add_f32 v23, v23, v91
	v_add_f32_e32 v104, v20, v104
	v_dual_fmamk_f32 v128, v25, 0xbf788fa5, v24 :: v_dual_add_f32 v123, v20, v123
	v_fma_f32 v24, 0xbf788fa5, v25, -v24
	s_delay_alu instid0(VALU_DEP_4)
	v_add_f32_e32 v23, v23, v96
	v_fmamk_f32 v25, v106, 0x3f116cb1, v119
	v_fma_f32 v119, 0x3f116cb1, v106, -v119
	v_add_f32_e32 v108, v20, v108
	v_add_f32_e32 v125, v20, v125
	;; [unrolled: 1-line block ×3, first 2 shown]
	s_delay_alu instid0(VALU_DEP_4)
	v_dual_add_f32 v107, v20, v107 :: v_dual_add_f32 v104, v119, v104
	v_fma_f32 v119, 0xbf788fa5, v106, -v121
	v_fmamk_f32 v129, v106, 0xbeb58ec6, v120
	v_fma_f32 v120, 0xbeb58ec6, v106, -v120
	v_add_f32_e32 v23, v23, v103
	v_dual_add_f32 v109, v20, v109 :: v_dual_mul_f32 v100, 0xbf7e222b, v99
	v_add_f32_e32 v103, v20, v128
	v_add_f32_e32 v24, v20, v24
	s_delay_alu instid0(VALU_DEP_4)
	v_dual_add_f32 v127, v20, v127 :: v_dual_add_f32 v20, v23, v102
	v_dual_fmamk_f32 v102, v106, 0xbf788fa5, v121 :: v_dual_add_f32 v107, v120, v107
	v_fmamk_f32 v120, v106, 0xbf3f9e67, v122
	v_fma_f32 v121, 0xbf3f9e67, v106, -v122
	v_mul_f32_e32 v122, 0x3f7e222b, v105
	v_dual_add_f32 v108, v119, v108 :: v_dual_mul_f32 v105, 0x3eedf032, v105
	s_delay_alu instid0(VALU_DEP_4) | instskip(SKIP_1) | instid1(VALU_DEP_4)
	v_add_f32_e32 v119, v120, v126
	v_add_f32_e32 v23, v129, v124
	v_fma_f32 v120, 0x3df6dbef, v106, -v122
	v_add_f32_e32 v102, v102, v125
	v_add_f32_e32 v109, v121, v109
	v_fmamk_f32 v101, v106, 0x3df6dbef, v122
	v_fmamk_f32 v121, v106, 0x3f62ad3f, v105
	v_fma_f32 v105, 0x3f62ad3f, v106, -v105
	v_add_f32_e32 v106, v120, v118
	v_fmamk_f32 v118, v98, 0x3df6dbef, v100
	v_mul_f32_e32 v120, 0xbe750f2a, v99
	v_fma_f32 v100, 0x3df6dbef, v98, -v100
	v_add_f32_e32 v25, v25, v123
	v_add_f32_e32 v24, v105, v24
	;; [unrolled: 1-line block ×3, first 2 shown]
	v_mul_f32_e32 v96, 0xbf6f5d39, v95
	v_dual_add_f32 v100, v100, v104 :: v_dual_fmamk_f32 v105, v98, 0xbf788fa5, v120
	v_fma_f32 v120, 0xbf788fa5, v98, -v120
	v_dual_mul_f32 v104, 0x3eedf032, v99 :: v_dual_add_f32 v25, v118, v25
	s_delay_alu instid0(VALU_DEP_3) | instskip(NEXT) | instid1(VALU_DEP_2)
	v_dual_sub_f32 v90, v90, v93 :: v_dual_add_f32 v23, v105, v23
	v_dual_add_f32 v107, v120, v107 :: v_dual_fmamk_f32 v120, v98, 0x3f62ad3f, v104
	v_mul_f32_e32 v118, 0x3f6f5d39, v99
	v_fma_f32 v104, 0x3f62ad3f, v98, -v104
	v_dual_sub_f32 v78, v78, v81 :: v_dual_add_f32 v89, v89, v91
	v_mul_f32_e32 v91, 0xbf29c268, v90
	s_delay_alu instid0(VALU_DEP_4) | instskip(SKIP_3) | instid1(VALU_DEP_4)
	v_fmamk_f32 v105, v98, 0xbeb58ec6, v118
	v_fma_f32 v118, 0xbeb58ec6, v98, -v118
	v_dual_add_f32 v104, v104, v109 :: v_dual_mul_f32 v81, 0xbf6f5d39, v90
	v_sub_f32_e32 v84, v84, v87
	v_dual_add_f32 v102, v105, v102 :: v_dual_mul_f32 v105, 0xbf52af12, v99
	s_delay_alu instid0(VALU_DEP_4) | instskip(SKIP_2) | instid1(VALU_DEP_4)
	v_dual_add_f32 v101, v101, v127 :: v_dual_add_f32 v108, v118, v108
	v_add_f32_e32 v118, v120, v119
	v_add_f32_e32 v103, v121, v103
	v_fmamk_f32 v97, v98, 0x3f116cb1, v105
	v_mul_f32_e32 v99, 0xbf29c268, v99
	v_fma_f32 v105, 0x3f116cb1, v98, -v105
	v_dual_add_f32 v77, v77, v79 :: v_dual_sub_f32 v70, v72, v70
	s_delay_alu instid0(VALU_DEP_4) | instskip(NEXT) | instid1(VALU_DEP_4)
	v_add_f32_e32 v97, v97, v101
	v_fmamk_f32 v101, v98, 0xbf3f9e67, v99
	v_fma_f32 v98, 0xbf3f9e67, v98, -v99
	v_add_f32_e32 v99, v105, v106
	v_fmamk_f32 v105, v94, 0xbeb58ec6, v96
	v_mul_f32_e32 v106, 0x3f29c268, v95
	v_fma_f32 v96, 0xbeb58ec6, v94, -v96
	v_dual_add_f32 v101, v101, v103 :: v_dual_add_f32 v24, v98, v24
	v_add_nc_u32_e32 v26, v26, v29
	s_delay_alu instid0(VALU_DEP_4) | instskip(SKIP_3) | instid1(VALU_DEP_4)
	v_fmamk_f32 v98, v94, 0xbf3f9e67, v106
	v_fma_f32 v103, 0xbf3f9e67, v94, -v106
	v_add_f32_e32 v96, v96, v100
	v_mul_f32_e32 v100, 0xbf7e222b, v95
	v_add_f32_e32 v23, v98, v23
	s_delay_alu instid0(VALU_DEP_4) | instskip(NEXT) | instid1(VALU_DEP_3)
	v_add_f32_e32 v98, v103, v107
	v_fmamk_f32 v106, v94, 0x3df6dbef, v100
	v_mul_f32_e32 v93, 0x3f52af12, v95
	v_add_f32_e32 v25, v105, v25
	v_mul_f32_e32 v105, 0x3eedf032, v95
	v_fma_f32 v100, 0x3df6dbef, v94, -v100
	s_delay_alu instid0(VALU_DEP_2) | instskip(SKIP_1) | instid1(VALU_DEP_3)
	v_fmamk_f32 v103, v94, 0x3f62ad3f, v105
	v_fma_f32 v105, 0x3f62ad3f, v94, -v105
	v_add_f32_e32 v100, v100, v104
	v_fmamk_f32 v104, v94, 0x3f116cb1, v93
	v_fma_f32 v93, 0x3f116cb1, v94, -v93
	s_delay_alu instid0(VALU_DEP_4) | instskip(SKIP_1) | instid1(VALU_DEP_3)
	v_dual_add_f32 v102, v103, v102 :: v_dual_add_f32 v103, v105, v108
	v_add_f32_e32 v105, v106, v118
	v_dual_mul_f32 v107, 0x3e750f2a, v95 :: v_dual_add_f32 v24, v93, v24
	s_delay_alu instid0(VALU_DEP_1) | instskip(SKIP_1) | instid1(VALU_DEP_2)
	v_fmamk_f32 v106, v94, 0xbf788fa5, v107
	v_fma_f32 v95, 0xbf788fa5, v94, -v107
	v_dual_mul_f32 v94, 0x3f7e222b, v90 :: v_dual_add_f32 v97, v106, v97
	s_delay_alu instid0(VALU_DEP_2) | instskip(NEXT) | instid1(VALU_DEP_2)
	v_add_f32_e32 v95, v95, v99
	v_fmamk_f32 v93, v89, 0x3df6dbef, v94
	v_fma_f32 v94, 0x3df6dbef, v89, -v94
	v_fmamk_f32 v99, v89, 0xbf3f9e67, v91
	v_fma_f32 v91, 0xbf3f9e67, v89, -v91
	s_delay_alu instid0(VALU_DEP_3) | instskip(NEXT) | instid1(VALU_DEP_2)
	v_dual_add_f32 v23, v93, v23 :: v_dual_add_f32 v94, v94, v98
	v_dual_mul_f32 v98, 0x3eedf032, v90 :: v_dual_add_f32 v91, v91, v96
	v_mul_f32_e32 v96, 0xbf52af12, v90
	s_delay_alu instid0(VALU_DEP_2) | instskip(NEXT) | instid1(VALU_DEP_1)
	v_fmamk_f32 v106, v89, 0x3f62ad3f, v98
	v_add_f32_e32 v97, v106, v97
	v_mul_f32_e32 v93, 0x3e750f2a, v90
	v_fma_f32 v90, 0x3f62ad3f, v89, -v98
	v_dual_mul_f32 v98, 0xbe750f2a, v78 :: v_dual_add_f32 v101, v104, v101
	s_delay_alu instid0(VALU_DEP_3) | instskip(SKIP_1) | instid1(VALU_DEP_1)
	v_fmamk_f32 v104, v89, 0xbf788fa5, v93
	v_fma_f32 v93, 0xbf788fa5, v89, -v93
	v_dual_add_f32 v93, v93, v100 :: v_dual_add_f32 v100, v51, v83
	s_delay_alu instid0(VALU_DEP_1)
	v_dual_add_f32 v79, v100, v73 :: v_dual_fmamk_f32 v100, v89, 0xbeb58ec6, v81
	v_fma_f32 v81, 0xbeb58ec6, v89, -v81
	v_add_f32_e32 v25, v99, v25
	v_fmamk_f32 v99, v89, 0x3f116cb1, v96
	v_fma_f32 v96, 0x3f116cb1, v89, -v96
	v_dual_add_f32 v89, v90, v95 :: v_dual_fmamk_f32 v90, v77, 0xbf788fa5, v98
	v_dual_add_f32 v24, v81, v24 :: v_dual_mul_f32 v81, 0x3eedf032, v78
	s_delay_alu instid0(VALU_DEP_4) | instskip(SKIP_1) | instid1(VALU_DEP_4)
	v_add_f32_e32 v99, v99, v102
	v_add_f32_e32 v95, v100, v101
	;; [unrolled: 1-line block ×3, first 2 shown]
	v_fma_f32 v90, 0xbf788fa5, v77, -v98
	v_mul_f32_e32 v98, 0xbf29c268, v78
	v_fmamk_f32 v100, v77, 0x3f62ad3f, v81
	v_fma_f32 v81, 0x3f62ad3f, v77, -v81
	v_add_f32_e32 v96, v96, v103
	s_delay_alu instid0(VALU_DEP_4) | instskip(NEXT) | instid1(VALU_DEP_3)
	v_dual_add_f32 v90, v90, v91 :: v_dual_fmamk_f32 v91, v77, 0xbf3f9e67, v98
	v_dual_add_f32 v102, v104, v105 :: v_dual_add_f32 v81, v81, v94
	v_mul_f32_e32 v104, 0xbf6f5d39, v21
	v_dual_mul_f32 v94, 0x3f52af12, v78 :: v_dual_add_f32 v23, v100, v23
	v_fma_f32 v98, 0xbf3f9e67, v77, -v98
	v_add_f32_e32 v73, v73, v80
	v_add_f32_e32 v91, v91, v99
	v_mul_f32_e32 v99, 0xbf6f5d39, v78
	v_fmamk_f32 v100, v77, 0x3f116cb1, v94
	v_fma_f32 v94, 0x3f116cb1, v77, -v94
	v_add_f32_e32 v96, v98, v96
	v_mul_f32_e32 v78, 0x3f7e222b, v78
	v_fmamk_f32 v98, v77, 0xbeb58ec6, v99
	v_add_f32_e32 v100, v100, v102
	v_dual_add_f32 v83, v83, v86 :: v_dual_mul_f32 v102, 0xbf29c268, v84
	s_delay_alu instid0(VALU_DEP_1)
	v_fmamk_f32 v75, v83, 0xbf3f9e67, v102
	v_fma_f32 v102, 0xbf3f9e67, v83, -v102
	v_add_f32_e32 v93, v94, v93
	v_add_f32_e32 v94, v98, v97
	v_mul_f32_e32 v98, 0xbeedf032, v84
	v_fma_f32 v87, 0xbeb58ec6, v77, -v99
	v_fmamk_f32 v97, v77, 0x3df6dbef, v78
	v_fma_f32 v77, 0x3df6dbef, v77, -v78
	s_delay_alu instid0(VALU_DEP_1) | instskip(NEXT) | instid1(VALU_DEP_1)
	v_dual_add_f32 v79, v79, v71 :: v_dual_add_f32 v24, v77, v24
	v_add_f32_e32 v79, v79, v50
	s_delay_alu instid0(VALU_DEP_1) | instskip(SKIP_1) | instid1(VALU_DEP_2)
	v_add_f32_e32 v79, v79, v38
	v_add_f32_e32 v38, v38, v46
	v_dual_add_f32 v79, v79, v30 :: v_dual_add_f32 v30, v30, v32
	s_delay_alu instid0(VALU_DEP_1) | instskip(NEXT) | instid1(VALU_DEP_1)
	v_dual_add_f32 v79, v79, v32 :: v_dual_mul_f32 v32, 0xbe750f2a, v31
	v_dual_add_f32 v79, v79, v46 :: v_dual_mul_f32 v46, 0xbf29c268, v39
	s_delay_alu instid0(VALU_DEP_1) | instskip(SKIP_2) | instid1(VALU_DEP_3)
	v_add_f32_e32 v79, v79, v48
	v_add_f32_e32 v48, v50, v48
	v_mul_f32_e32 v50, 0xbf6f5d39, v49
	v_add_f32_e32 v79, v79, v53
	v_add_f32_e32 v53, v71, v53
	v_mul_f32_e32 v71, 0xbf7e222b, v70
	v_add_f32_e32 v75, v51, v75
	s_delay_alu instid0(VALU_DEP_4) | instskip(SKIP_2) | instid1(VALU_DEP_3)
	v_add_f32_e32 v78, v79, v80
	v_add_f32_e32 v87, v87, v89
	v_fmamk_f32 v89, v83, 0x3f62ad3f, v98
	v_dual_mul_f32 v80, 0xbf52af12, v21 :: v_dual_add_f32 v77, v78, v86
	v_fma_f32 v78, 0x3f62ad3f, v83, -v98
	v_mul_f32_e32 v98, 0xbf6f5d39, v84
	s_delay_alu instid0(VALU_DEP_4) | instskip(NEXT) | instid1(VALU_DEP_3)
	v_add_f32_e32 v86, v51, v89
	v_dual_add_f32 v78, v51, v78 :: v_dual_add_f32 v79, v97, v95
	v_mul_f32_e32 v95, 0xbf52af12, v84
	v_mul_f32_e32 v97, 0xbf7e222b, v84
	;; [unrolled: 1-line block ×3, first 2 shown]
	v_fmamk_f32 v101, v83, 0xbeb58ec6, v98
	v_fma_f32 v98, 0xbeb58ec6, v83, -v98
	v_fmamk_f32 v89, v83, 0x3f116cb1, v95
	v_fma_f32 v95, 0x3f116cb1, v83, -v95
	;; [unrolled: 2-line block ×4, first 2 shown]
	v_add_f32_e32 v84, v51, v102
	v_dual_fmamk_f32 v102, v73, 0x3f116cb1, v80 :: v_dual_add_f32 v89, v51, v89
	v_add_f32_e32 v95, v51, v95
	v_add_f32_e32 v99, v51, v99
	;; [unrolled: 1-line block ×7, first 2 shown]
	v_dual_add_f32 v83, v102, v86 :: v_dual_fmamk_f32 v86, v73, 0xbeb58ec6, v104
	v_mul_f32_e32 v102, 0xbe750f2a, v21
	v_fma_f32 v80, 0x3f116cb1, v73, -v80
	v_fma_f32 v104, 0xbeb58ec6, v73, -v104
	s_delay_alu instid0(VALU_DEP_3) | instskip(NEXT) | instid1(VALU_DEP_3)
	v_dual_add_f32 v86, v86, v89 :: v_dual_fmamk_f32 v89, v73, 0xbf788fa5, v102
	v_add_f32_e32 v78, v80, v78
	v_mul_f32_e32 v80, 0x3f29c268, v21
	v_fma_f32 v102, 0xbf788fa5, v73, -v102
	s_delay_alu instid0(VALU_DEP_4) | instskip(SKIP_2) | instid1(VALU_DEP_2)
	v_add_f32_e32 v89, v89, v99
	v_mul_f32_e32 v99, 0x3f7e222b, v21
	v_mul_f32_e32 v21, 0x3eedf032, v21
	v_fmamk_f32 v72, v73, 0x3df6dbef, v99
	s_delay_alu instid0(VALU_DEP_1) | instskip(SKIP_1) | instid1(VALU_DEP_1)
	v_dual_add_f32 v72, v72, v75 :: v_dual_fmamk_f32 v75, v73, 0x3f62ad3f, v21
	v_fma_f32 v21, 0x3f62ad3f, v73, -v21
	v_add_f32_e32 v21, v21, v51
	v_fma_f32 v51, 0x3df6dbef, v53, -v71
	s_delay_alu instid0(VALU_DEP_1) | instskip(SKIP_3) | instid1(VALU_DEP_1)
	v_add_f32_e32 v51, v51, v78
	v_dual_mul_f32 v78, 0x3eedf032, v70 :: v_dual_add_f32 v95, v104, v95
	v_fmamk_f32 v104, v73, 0xbf3f9e67, v80
	v_fma_f32 v80, 0xbf3f9e67, v73, -v80
	v_add_f32_e32 v80, v80, v98
	v_fma_f32 v98, 0x3df6dbef, v73, -v99
	s_delay_alu instid0(VALU_DEP_1) | instskip(NEXT) | instid1(VALU_DEP_1)
	v_dual_add_f32 v73, v98, v84 :: v_dual_fmamk_f32 v84, v53, 0x3df6dbef, v71
	v_dual_mul_f32 v98, 0xbe750f2a, v70 :: v_dual_add_f32 v71, v84, v83
	s_delay_alu instid0(VALU_DEP_1) | instskip(SKIP_2) | instid1(VALU_DEP_2)
	v_fmamk_f32 v83, v53, 0xbf788fa5, v98
	v_mul_f32_e32 v84, 0x3f6f5d39, v70
	v_fma_f32 v98, 0xbf788fa5, v53, -v98
	v_dual_add_f32 v83, v83, v86 :: v_dual_fmamk_f32 v86, v53, 0xbeb58ec6, v84
	s_delay_alu instid0(VALU_DEP_2) | instskip(SKIP_2) | instid1(VALU_DEP_4)
	v_dual_add_f32 v95, v98, v95 :: v_dual_fmamk_f32 v98, v53, 0x3f62ad3f, v78
	v_fma_f32 v78, 0x3f62ad3f, v53, -v78
	v_fma_f32 v84, 0xbeb58ec6, v53, -v84
	v_dual_add_f32 v86, v86, v89 :: v_dual_mul_f32 v89, 0xbf52af12, v70
	v_mul_f32_e32 v70, 0xbf29c268, v70
	s_delay_alu instid0(VALU_DEP_4) | instskip(NEXT) | instid1(VALU_DEP_3)
	v_add_f32_e32 v78, v78, v80
	v_dual_add_f32 v97, v102, v97 :: v_dual_fmamk_f32 v52, v53, 0x3f116cb1, v89
	v_fma_f32 v80, 0x3f116cb1, v53, -v89
	v_add_f32_e32 v101, v104, v101
	s_delay_alu instid0(VALU_DEP_3) | instskip(NEXT) | instid1(VALU_DEP_4)
	v_add_f32_e32 v84, v84, v97
	v_add_f32_e32 v52, v52, v72
	v_fmamk_f32 v72, v53, 0xbf3f9e67, v70
	v_fma_f32 v53, 0xbf3f9e67, v53, -v70
	v_add_f32_e32 v70, v80, v73
	v_fmamk_f32 v73, v48, 0xbeb58ec6, v50
	v_dual_mul_f32 v80, 0x3f29c268, v49 :: v_dual_add_f32 v75, v75, v103
	s_delay_alu instid0(VALU_DEP_4) | instskip(SKIP_1) | instid1(VALU_DEP_4)
	v_add_f32_e32 v21, v53, v21
	v_fma_f32 v50, 0xbeb58ec6, v48, -v50
	v_add_f32_e32 v53, v73, v71
	s_delay_alu instid0(VALU_DEP_4) | instskip(SKIP_3) | instid1(VALU_DEP_3)
	v_dual_mul_f32 v73, 0x3eedf032, v49 :: v_dual_add_f32 v72, v72, v75
	v_fmamk_f32 v71, v48, 0xbf3f9e67, v80
	v_fma_f32 v75, 0xbf3f9e67, v48, -v80
	v_dual_add_f32 v50, v50, v51 :: v_dual_mul_f32 v51, 0xbf7e222b, v49
	v_dual_fmamk_f32 v80, v48, 0x3f62ad3f, v73 :: v_dual_add_f32 v71, v71, v83
	v_fma_f32 v73, 0x3f62ad3f, v48, -v73
	s_delay_alu instid0(VALU_DEP_4) | instskip(NEXT) | instid1(VALU_DEP_4)
	v_add_f32_e32 v75, v75, v95
	v_fmamk_f32 v83, v48, 0x3df6dbef, v51
	v_fma_f32 v51, 0x3df6dbef, v48, -v51
	v_add_f32_e32 v80, v80, v86
	v_mul_f32_e32 v86, 0x3e750f2a, v49
	v_mul_f32_e32 v49, 0x3f52af12, v49
	v_add_f32_e32 v73, v73, v84
	v_add_f32_e32 v51, v51, v78
	s_delay_alu instid0(VALU_DEP_4) | instskip(SKIP_1) | instid1(VALU_DEP_2)
	v_fmamk_f32 v47, v48, 0xbf788fa5, v86
	v_fma_f32 v78, 0xbf788fa5, v48, -v86
	v_dual_add_f32 v47, v47, v52 :: v_dual_fmamk_f32 v52, v48, 0x3f116cb1, v49
	s_delay_alu instid0(VALU_DEP_2)
	v_add_f32_e32 v70, v78, v70
	v_fma_f32 v48, 0x3f116cb1, v48, -v49
	v_fmamk_f32 v49, v38, 0xbf3f9e67, v46
	v_mul_f32_e32 v78, 0x3f7e222b, v39
	v_fma_f32 v46, 0xbf3f9e67, v38, -v46
	v_add_f32_e32 v52, v52, v72
	v_add_f32_e32 v21, v48, v21
	s_delay_alu instid0(VALU_DEP_4) | instskip(NEXT) | instid1(VALU_DEP_4)
	v_dual_add_f32 v48, v49, v53 :: v_dual_fmamk_f32 v49, v38, 0x3df6dbef, v78
	v_dual_mul_f32 v53, 0xbf52af12, v39 :: v_dual_add_f32 v46, v46, v50
	v_fma_f32 v50, 0x3df6dbef, v38, -v78
	v_mul_f32_e32 v72, 0x3e750f2a, v39
	s_delay_alu instid0(VALU_DEP_4) | instskip(NEXT) | instid1(VALU_DEP_4)
	v_add_f32_e32 v49, v49, v71
	v_fmamk_f32 v71, v38, 0x3f116cb1, v53
	v_fma_f32 v53, 0x3f116cb1, v38, -v53
	v_add_f32_e32 v50, v50, v75
	v_fmamk_f32 v75, v38, 0xbf788fa5, v72
	v_fma_f32 v72, 0xbf788fa5, v38, -v72
	v_add_f32_e32 v97, v98, v101
	v_add_f32_e32 v53, v53, v73
	v_mul_f32_e32 v73, 0x3eedf032, v39
	v_add_f32_e32 v71, v71, v80
	v_add_f32_e32 v51, v72, v51
	s_delay_alu instid0(VALU_DEP_3)
	v_fma_f32 v72, 0x3f62ad3f, v38, -v73
	v_fmamk_f32 v39, v38, 0x3f62ad3f, v73
	v_fmamk_f32 v73, v38, 0xbeb58ec6, v33
	v_fma_f32 v33, 0xbeb58ec6, v38, -v33
	v_fmamk_f32 v38, v30, 0xbf788fa5, v32
	v_add_f32_e32 v70, v72, v70
	v_mul_f32_e32 v72, 0x3eedf032, v31
	v_fma_f32 v32, 0xbf788fa5, v30, -v32
	v_add_f32_e32 v39, v39, v47
	v_add_f32_e32 v21, v33, v21
	v_dual_add_f32 v33, v38, v48 :: v_dual_mul_f32 v38, 0xbf29c268, v31
	s_delay_alu instid0(VALU_DEP_4)
	v_add_f32_e32 v47, v32, v46
	v_fma_f32 v32, 0x3f62ad3f, v30, -v72
	v_dual_add_f32 v83, v83, v97 :: v_dual_add_f32 v52, v73, v52
	v_fmamk_f32 v48, v30, 0x3f62ad3f, v72
	v_mul_f32_e32 v72, 0x3f52af12, v31
	v_fmamk_f32 v73, v30, 0xbf3f9e67, v38
	v_fma_f32 v38, 0xbf3f9e67, v30, -v38
	v_add_f32_e32 v46, v32, v50
	v_mul_f32_e32 v50, 0xbf6f5d39, v31
	v_mul_f32_e32 v31, 0x3f7e222b, v31
	v_dual_add_f32 v75, v75, v83 :: v_dual_add_f32 v48, v48, v49
	v_dual_fmamk_f32 v32, v30, 0x3f116cb1, v72 :: v_dual_add_f32 v49, v73, v71
	v_add_f32_e32 v38, v38, v53
	v_fma_f32 v53, 0x3f116cb1, v30, -v72
	v_fmamk_f32 v71, v30, 0xbeb58ec6, v50
	v_fma_f32 v50, 0xbeb58ec6, v30, -v50
	v_fmamk_f32 v72, v30, 0x3df6dbef, v31
	v_fma_f32 v30, 0x3df6dbef, v30, -v31
	v_add_f32_e32 v32, v32, v75
	v_add_f32_e32 v31, v53, v51
	v_dual_add_f32 v39, v71, v39 :: v_dual_add_f32 v50, v50, v70
	v_add_f32_e32 v51, v72, v52
	v_add_f32_e32 v21, v30, v21
	ds_store_2addr_b32 v110, v20, v25 offset1:26
	ds_store_2addr_b32 v110, v23, v91 offset0:52 offset1:78
	ds_store_2addr_b32 v110, v100, v94 offset0:104 offset1:130
	;; [unrolled: 1-line block ×5, first 2 shown]
	ds_store_b32 v110, v90 offset:1248
	ds_store_2addr_b32 v112, v77, v33 offset1:26
	ds_store_2addr_b32 v112, v48, v49 offset0:52 offset1:78
	ds_store_2addr_b32 v112, v32, v39 offset0:104 offset1:130
	ds_store_2addr_b32 v112, v51, v21 offset0:156 offset1:182
	ds_store_2addr_b32 v112, v50, v31 offset0:208 offset1:234
	ds_store_2addr_b32 v115, v38, v46 offset0:4 offset1:30
	ds_store_b32 v112, v47 offset:1248
	global_wb scope:SCOPE_SE
	s_wait_dscnt 0x0
	s_barrier_signal -1
	s_barrier_wait -1
	global_inv scope:SCOPE_SE
	ds_load_2addr_b32 v[20:21], v28 offset0:82 offset1:134
	ds_load_2addr_b32 v[24:25], v34 offset0:164 offset1:216
	;; [unrolled: 1-line block ×6, first 2 shown]
	ds_load_b32 v71, v40
	ds_load_b32 v50, v35
	;; [unrolled: 1-line block ×4, first 2 shown]
	ds_load_2addr_b32 v[34:35], v34 offset0:34 offset1:86
	ds_load_2addr_b32 v[38:39], v36 offset0:116 offset1:168
	;; [unrolled: 1-line block ×3, first 2 shown]
	ds_load_b32 v51, v26
	ds_load_b32 v70, v114
                                        ; implicit-def: $vgpr48
                                        ; implicit-def: $vgpr49
	s_and_saveexec_b32 s1, s0
	s_cbranch_execz .LBB0_17
; %bb.16:
	ds_load_b32 v47, v40 offset:2600
	ds_load_b32 v48, v40 offset:3952
	ds_load_b32 v46, v116
	ds_load_b32 v49, v40 offset:5304
	v_mov_b32_e32 v41, v64
.LBB0_17:
	s_wait_alu 0xfffe
	s_or_b32 exec_lo, exec_lo, s1
	s_and_saveexec_b32 s1, vcc_lo
	s_cbranch_execz .LBB0_20
; %bb.18:
	v_mul_u32_u24_e32 v40, 3, v54
	v_mul_i32_i24_e32 v26, 3, v69
	v_mov_b32_e32 v27, 0
	v_mad_co_u64_u32 v[111:112], null, s8, v54, 0
	s_delay_alu instid0(VALU_DEP_4) | instskip(SKIP_1) | instid1(VALU_DEP_4)
	v_lshlrev_b32_e32 v40, 3, v40
	v_add_nc_u32_e32 v139, 0x152, v54
	v_lshlrev_b64_e32 v[72:73], 3, v[26:27]
	v_mul_i32_i24_e32 v26, 3, v68
	v_mad_co_u64_u32 v[113:114], null, s8, v63, 0
	s_clause 0x1
	global_load_b128 v[77:80], v40, s[4:5] offset:2688
	global_load_b64 v[83:84], v40, s[4:5] offset:2704
	v_mad_co_u64_u32 v[115:116], null, s8, v60, 0
	v_lshlrev_b64_e32 v[68:69], 3, v[26:27]
	v_add_co_u32 v72, vcc_lo, s4, v72
	s_wait_alu 0xfffd
	v_add_co_ci_u32_e32 v73, vcc_lo, s5, v73, vcc_lo
	v_mul_i32_i24_e32 v26, 3, v67
	s_delay_alu instid0(VALU_DEP_4)
	v_add_co_u32 v68, vcc_lo, s4, v68
	s_wait_alu 0xfffd
	v_add_co_ci_u32_e32 v69, vcc_lo, s5, v69, vcc_lo
	s_clause 0x3
	global_load_b128 v[93:96], v[72:73], off offset:2688
	global_load_b64 v[72:73], v[72:73], off offset:2704
	global_load_b128 v[97:100], v[68:69], off offset:2688
	global_load_b64 v[86:87], v[68:69], off offset:2704
	v_lshlrev_b64_e32 v[67:68], 3, v[26:27]
	v_mul_i32_i24_e32 v26, 3, v66
	v_dual_mov_b32 v40, v114 :: v_dual_add_nc_u32 v141, 0x3f6, v54
	v_mad_co_u64_u32 v[119:120], null, s8, v58, 0
	s_delay_alu instid0(VALU_DEP_4)
	v_add_co_u32 v67, vcc_lo, s4, v67
	s_wait_alu 0xfffd
	v_add_co_ci_u32_e32 v68, vcc_lo, s5, v68, vcc_lo
	s_clause 0x1
	global_load_b128 v[101:104], v[67:68], off offset:2688
	global_load_b64 v[89:90], v[67:68], off offset:2704
	v_lshlrev_b64_e32 v[66:67], 3, v[26:27]
	v_mul_i32_i24_e32 v26, 3, v65
	v_mad_co_u64_u32 v[123:124], null, s8, v59, 0
	v_mad_co_u64_u32 v[117:118], null, s8, v62, 0
	s_delay_alu instid0(VALU_DEP_4)
	v_add_co_u32 v105, vcc_lo, s4, v66
	s_wait_alu 0xfffd
	v_add_co_ci_u32_e32 v106, vcc_lo, s5, v67, vcc_lo
	s_clause 0x1
	global_load_b128 v[66:69], v[105:106], off offset:2688
	global_load_b64 v[109:110], v[105:106], off offset:2704
	v_lshlrev_b64_e32 v[64:65], 3, v[26:27]
	v_mov_b32_e32 v26, v112
	v_mad_co_u64_u32 v[125:126], null, s8, v139, 0
	v_mad_co_u64_u32 v[121:122], null, s8, v61, 0
	s_delay_alu instid0(VALU_DEP_4)
	v_add_co_u32 v64, vcc_lo, s4, v64
	s_wait_alu 0xfffd
	v_add_co_ci_u32_e32 v65, vcc_lo, s5, v65, vcc_lo
	s_clause 0x1
	global_load_b128 v[105:108], v[64:65], off offset:2688
	global_load_b64 v[64:65], v[64:65], off offset:2704
	v_mad_co_u64_u32 v[127:128], null, s8, v141, 0
	v_dual_mov_b32 v112, v122 :: v_dual_add_nc_u32 v143, 0x186, v54
	v_dual_mov_b32 v75, v116 :: v_dual_add_nc_u32 v144, 0x42a, v54
	v_mov_b32_e32 v91, v120
	v_dual_mov_b32 v114, v124 :: v_dual_add_nc_u32 v145, 0x1ba, v54
	v_mov_b32_e32 v81, v118
	v_mad_co_u64_u32 v[133:134], null, s9, v54, v[26:27]
	v_mov_b32_e32 v26, v126
	v_mad_co_u64_u32 v[129:130], null, s8, v143, 0
	v_mad_co_u64_u32 v[134:135], null, s9, v63, v[40:41]
	;; [unrolled: 1-line block ×3, first 2 shown]
	v_mov_b32_e32 v40, v128
	v_mad_co_u64_u32 v[136:137], null, s9, v58, v[91:92]
	v_mad_co_u64_u32 v[137:138], null, s9, v59, v[114:115]
	;; [unrolled: 1-line block ×5, first 2 shown]
	v_mov_b32_e32 v58, v130
	v_mad_co_u64_u32 v[62:63], null, s9, v62, v[81:82]
	v_mad_co_u64_u32 v[141:142], null, s9, v141, v[40:41]
	s_delay_alu instid0(VALU_DEP_3) | instskip(SKIP_4) | instid1(VALU_DEP_4)
	v_mad_co_u64_u32 v[58:59], null, s9, v143, v[58:59]
	v_dual_mov_b32 v26, v132 :: v_dual_add_nc_u32 v59, 0x45e, v54
	v_dual_mov_b32 v40, v140 :: v_dual_add_nc_u32 v63, 0x1ee, v54
	v_mad_co_u64_u32 v[60:61], null, s9, v61, v[112:113]
	v_mov_b32_e32 v112, v133
	v_mad_co_u64_u32 v[132:133], null, s9, v144, v[26:27]
	v_mov_b32_e32 v114, v134
	;; [unrolled: 2-line block ×4, first 2 shown]
	v_mov_b32_e32 v130, v58
	v_mov_b32_e32 v122, v60
	;; [unrolled: 1-line block ×4, first 2 shown]
	v_add_co_u32 v0, vcc_lo, s10, v0
	s_wait_alu 0xfffd
	v_add_co_ci_u32_e32 v1, vcc_lo, s11, v1, vcc_lo
	s_wait_loadcnt_dscnt 0xb0e
	v_mul_f32_e32 v75, v20, v78
	s_wait_loadcnt_dscnt 0xa0c
	v_mul_f32_e32 v81, v22, v84
	v_mad_co_u64_u32 v[142:143], null, s9, v145, v[40:41]
	v_mad_co_u64_u32 v[143:144], null, s8, v63, 0
	v_mul_f32_e32 v84, v6, v84
	s_delay_alu instid0(VALU_DEP_4) | instskip(SKIP_2) | instid1(VALU_DEP_4)
	v_fma_f32 v6, v6, v83, -v81
	v_lshlrev_b64_e32 v[111:112], 3, v[111:112]
	v_mov_b32_e32 v140, v142
	v_fmac_f32_e32 v84, v22, v83
	v_mov_b32_e32 v40, v144
	s_wait_loadcnt_dscnt 0x903
	v_mul_f32_e32 v22, v39, v95
	v_mul_f32_e32 v39, v39, v96
	v_lshlrev_b64_e32 v[113:114], 3, v[113:114]
	v_add_co_u32 v111, vcc_lo, v0, v111
	s_wait_alu 0xfffd
	v_add_co_ci_u32_e32 v112, vcc_lo, v1, v112, vcc_lo
	s_delay_alu instid0(VALU_DEP_3)
	v_add_co_u32 v113, vcc_lo, v0, v113
	s_wait_alu 0xfffd
	v_add_co_ci_u32_e32 v114, vcc_lo, v1, v114, vcc_lo
	s_wait_loadcnt 0x5
	v_dual_mul_f32 v83, v9, v104 :: v_dual_mul_f32 v78, v4, v78
	v_fma_f32 v4, v4, v77, -v75
	v_dual_mul_f32 v75, v17, v94 :: v_dual_mov_b32 v26, v134
	s_delay_alu instid0(VALU_DEP_3) | instskip(SKIP_1) | instid1(VALU_DEP_3)
	v_dual_fmac_f32 v83, v33, v103 :: v_dual_fmac_f32 v78, v20, v77
	v_mul_f32_e32 v20, v35, v94
	v_fmac_f32_e32 v75, v35, v93
	s_delay_alu instid0(VALU_DEP_4)
	v_mad_co_u64_u32 v[59:60], null, s9, v59, v[26:27]
	v_mov_b32_e32 v26, v62
	v_mul_f32_e32 v35, v34, v98
	v_mad_co_u64_u32 v[62:63], null, s9, v63, v[40:41]
	v_mul_f32_e32 v40, v2, v80
	v_mul_f32_e32 v80, v24, v80
	v_fmac_f32_e32 v22, v15, v96
	v_fma_f32 v15, v15, v95, -v39
	v_mul_f32_e32 v39, v18, v87
	v_fmac_f32_e32 v40, v24, v79
	s_wait_dscnt 0x2
	v_mul_f32_e32 v24, v37, v73
	v_dual_mul_f32 v73, v19, v73 :: v_dual_mov_b32 v126, v138
	v_fmac_f32_e32 v39, v36, v86
	v_fma_f32 v2, v2, v79, -v80
	v_fma_f32 v79, v17, v93, -v20
	s_delay_alu instid0(VALU_DEP_4)
	v_fmac_f32_e32 v73, v37, v72
	v_mul_f32_e32 v37, v36, v87
	v_fma_f32 v17, v19, v72, -v24
	v_mul_f32_e32 v24, v38, v99
	s_wait_loadcnt 0x4
	v_dual_mul_f32 v38, v38, v100 :: v_dual_mul_f32 v87, v13, v90
	v_fma_f32 v18, v18, v86, -v37
	v_mul_f32_e32 v86, v11, v102
	v_mul_f32_e32 v36, v29, v102
	s_delay_alu instid0(VALU_DEP_4)
	v_fma_f32 v37, v14, v99, -v38
	v_mul_f32_e32 v38, v31, v90
	v_fmac_f32_e32 v87, v31, v89
	v_fmac_f32_e32 v86, v29, v101
	s_wait_loadcnt 0x3
	v_mul_f32_e32 v29, v8, v69
	s_wait_loadcnt 0x2
	v_dual_mul_f32 v31, v30, v110 :: v_dual_mov_b32 v120, v136
	v_sub_f32_e32 v77, v78, v84
	v_mul_f32_e32 v84, v33, v104
	v_mul_f32_e32 v80, v16, v98
	v_fma_f32 v33, v11, v101, -v36
	v_fma_f32 v11, v13, v89, -v38
	v_sub_f32_e32 v6, v4, v6
	v_fma_f32 v9, v9, v103, -v84
	v_sub_f32_e32 v2, v92, v2
	v_mul_f32_e32 v13, v28, v67
	v_dual_mul_f32 v67, v10, v67 :: v_dual_mul_f32 v84, v12, v110
	s_delay_alu instid0(VALU_DEP_3)
	v_dual_mov_b32 v134, v59 :: v_dual_sub_f32 v19, v2, v77
	v_fma_f32 v72, v78, 2.0, -v77
	v_fma_f32 v77, v92, 2.0, -v2
	;; [unrolled: 1-line block ×3, first 2 shown]
	v_sub_f32_e32 v73, v75, v73
	v_fma_f32 v31, v12, v109, -v31
	v_dual_fmac_f32 v80, v34, v97 :: v_dual_fmac_f32 v67, v28, v66
	v_fmac_f32_e32 v84, v30, v109
	v_sub_f32_e32 v78, v88, v15
	v_fma_f32 v81, v16, v97, -v35
	v_sub_f32_e32 v16, v77, v4
	v_fma_f32 v4, v75, 2.0, -v73
	s_delay_alu instid0(VALU_DEP_4)
	v_dual_sub_f32 v75, v80, v39 :: v_dual_sub_f32 v34, v78, v73
	v_dual_sub_f32 v73, v85, v37 :: v_dual_sub_f32 v40, v71, v40
	v_lshlrev_b64_e32 v[115:116], 3, v[115:116]
	v_lshlrev_b64_e32 v[117:118], 3, v[117:118]
	;; [unrolled: 1-line block ×3, first 2 shown]
	v_fmac_f32_e32 v29, v32, v68
	v_fma_f32 v71, v71, 2.0, -v40
	v_mov_b32_e32 v144, v62
	v_add_f32_e32 v20, v40, v6
	s_wait_dscnt 0x0
	v_sub_f32_e32 v6, v70, v22
	v_sub_f32_e32 v22, v79, v17
	;; [unrolled: 1-line block ×3, first 2 shown]
	v_add_co_u32 v115, vcc_lo, v0, v115
	s_wait_alu 0xfffd
	v_add_co_ci_u32_e32 v116, vcc_lo, v1, v116, vcc_lo
	v_add_f32_e32 v35, v6, v22
	v_fma_f32 v22, v79, 2.0, -v22
	v_mul_f32_e32 v79, v32, v69
	v_fma_f32 v37, v71, 2.0, -v17
	v_sub_f32_e32 v71, v73, v75
	v_fma_f32 v32, v10, v66, -v13
	s_wait_loadcnt 0x0
	v_mul_f32_e32 v66, v23, v65
	v_mul_f32_e32 v65, v7, v65
	v_fma_f32 v15, v40, 2.0, -v20
	v_fma_f32 v40, v88, 2.0, -v78
	v_lshlrev_b64_e32 v[121:122], 3, v[121:122]
	v_add_co_u32 v117, vcc_lo, v0, v117
	s_wait_alu 0xfffd
	v_add_co_ci_u32_e32 v118, vcc_lo, v1, v118, vcc_lo
	v_lshlrev_b64_e32 v[58:59], 3, v[123:124]
	v_add_co_u32 v119, vcc_lo, v0, v119
	v_dual_sub_f32 v69, v40, v22 :: v_dual_fmac_f32 v24, v14, v100
	s_wait_alu 0xfffd
	v_add_co_ci_u32_e32 v120, vcc_lo, v1, v120, vcc_lo
	v_lshlrev_b64_e32 v[62:63], 3, v[125:126]
	v_add_co_u32 v121, vcc_lo, v0, v121
	s_wait_alu 0xfffd
	v_add_co_ci_u32_e32 v122, vcc_lo, v1, v122, vcc_lo
	v_lshlrev_b64_e32 v[123:124], 3, v[127:128]
	v_add_co_u32 v58, vcc_lo, v0, v58
	v_sub_f32_e32 v24, v53, v24
	v_sub_f32_e32 v18, v81, v18
	s_wait_alu 0xfffd
	v_add_co_ci_u32_e32 v59, vcc_lo, v1, v59, vcc_lo
	v_add_co_u32 v62, vcc_lo, v0, v62
	s_wait_alu 0xfffd
	v_add_co_ci_u32_e32 v63, vcc_lo, v1, v63, vcc_lo
	v_fma_f32 v36, v77, 2.0, -v16
	v_add_f32_e32 v72, v24, v18
	v_fma_f32 v22, v85, 2.0, -v73
	v_fma_f32 v18, v81, 2.0, -v18
	v_sub_f32_e32 v77, v82, v9
	v_fma_f32 v14, v2, 2.0, -v19
	v_fma_f32 v2, v70, 2.0, -v6
	v_add_co_u32 v123, vcc_lo, v0, v123
	s_wait_alu 0xfffd
	v_add_co_ci_u32_e32 v124, vcc_lo, v1, v124, vcc_lo
	v_fma_f32 v39, v6, 2.0, -v35
	v_sub_f32_e32 v70, v2, v4
	v_fma_f32 v4, v53, 2.0, -v24
	s_clause 0x3
	global_store_b64 v[111:112], v[36:37], off
	global_store_b64 v[62:63], v[14:15], off
	;; [unrolled: 1-line block ×4, first 2 shown]
	v_dual_sub_f32 v12, v22, v18 :: v_dual_sub_f32 v19, v32, v31
	v_fma_f32 v6, v80, 2.0, -v75
	v_sub_f32_e32 v75, v33, v11
	v_fma_f32 v11, v24, 2.0, -v72
	v_sub_f32_e32 v24, v51, v29
	v_sub_f32_e32 v29, v67, v84
	v_fma_f32 v9, v2, 2.0, -v70
	v_fma_f32 v2, v22, 2.0, -v12
	v_sub_f32_e32 v53, v52, v83
	v_fma_f32 v37, v51, 2.0, -v24
	v_fma_f32 v22, v67, 2.0, -v29
	v_fma_f32 v68, v8, v68, -v79
	v_mul_f32_e32 v28, v3, v108
	v_mul_f32_e32 v30, v21, v106
	;; [unrolled: 1-line block ×3, first 2 shown]
	v_dual_mul_f32 v80, v5, v106 :: v_dual_fmac_f32 v65, v23, v64
	v_sub_f32_e32 v23, v37, v22
	v_fma_f32 v38, v78, 2.0, -v34
	v_dual_sub_f32 v78, v86, v87 :: v_dual_sub_f32 v13, v4, v6
	v_fma_f32 v18, v52, 2.0, -v53
	v_fma_f32 v20, v82, 2.0, -v77
	;; [unrolled: 1-line block ×3, first 2 shown]
	s_delay_alu instid0(VALU_DEP_4)
	v_fma_f32 v6, v86, 2.0, -v78
	v_fmac_f32_e32 v28, v25, v107
	v_fma_f32 v25, v5, v105, -v30
	v_fma_f32 v30, v7, v64, -v66
	;; [unrolled: 1-line block ×3, first 2 shown]
	v_fmac_f32_e32 v80, v21, v105
	v_dual_sub_f32 v36, v76, v68 :: v_dual_sub_f32 v7, v18, v6
	v_sub_f32_e32 v6, v20, v16
	v_dual_sub_f32 v33, v50, v28 :: v_dual_sub_f32 v28, v25, v30
	s_delay_alu instid0(VALU_DEP_4)
	v_dual_sub_f32 v30, v80, v65 :: v_dual_sub_f32 v51, v74, v31
	v_add_f32_e32 v17, v24, v19
	v_sub_f32_e32 v16, v36, v29
	v_fma_f32 v32, v32, 2.0, -v19
	v_fma_f32 v19, v18, 2.0, -v7
	;; [unrolled: 1-line block ×7, first 2 shown]
	v_lshlrev_b64_e32 v[125:126], 3, v[129:130]
	v_lshlrev_b64_e32 v[127:128], 3, v[131:132]
	v_fma_f32 v8, v40, 2.0, -v69
	v_fma_f32 v40, v76, 2.0, -v36
	v_add_f32_e32 v25, v33, v28
	v_dual_sub_f32 v29, v20, v29 :: v_dual_sub_f32 v28, v50, v31
	v_fma_f32 v21, v24, 2.0, -v17
	v_sub_f32_e32 v24, v51, v30
	v_mul_hi_u32 v60, 0x60f25deb, v56
	v_lshlrev_b64_e32 v[129:130], 3, v[139:140]
	v_add_co_u32 v125, vcc_lo, v0, v125
	s_wait_alu 0xfffd
	v_add_co_ci_u32_e32 v126, vcc_lo, v1, v126, vcc_lo
	v_sub_f32_e32 v22, v40, v32
	v_add_co_u32 v127, vcc_lo, v0, v127
	v_fma_f32 v31, v33, 2.0, -v25
	v_fma_f32 v33, v20, 2.0, -v29
	;; [unrolled: 1-line block ×4, first 2 shown]
	s_wait_alu 0xfffd
	v_add_co_ci_u32_e32 v128, vcc_lo, v1, v128, vcc_lo
	v_lshlrev_b64_e32 v[131:132], 3, v[133:134]
	v_add_co_u32 v129, vcc_lo, v0, v129
	v_fma_f32 v20, v36, 2.0, -v16
	v_fma_f32 v37, v37, 2.0, -v23
	;; [unrolled: 1-line block ×3, first 2 shown]
	s_wait_alu 0xfffd
	v_add_co_ci_u32_e32 v130, vcc_lo, v1, v130, vcc_lo
	s_clause 0x5
	global_store_b64 v[115:116], v[32:33], off
	global_store_b64 v[125:126], v[30:31], off
	global_store_b64 v[117:118], v[28:29], off
	global_store_b64 v[127:128], v[24:25], off
	global_store_b64 v[119:120], v[36:37], off
	global_store_b64 v[129:130], v[20:21], off
	v_lshrrev_b32_e32 v29, 7, v60
	v_add_nc_u32_e32 v28, 0x492, v54
	v_mad_co_u64_u32 v[20:21], null, s9, v57, v[26:27]
	v_add_co_u32 v131, vcc_lo, v0, v131
	s_delay_alu instid0(VALU_DEP_4) | instskip(SKIP_3) | instid1(VALU_DEP_3)
	v_mad_u32_u24 v32, 0x3f6, v29, v56
	s_wait_alu 0xfffd
	v_add_co_ci_u32_e32 v132, vcc_lo, v1, v132, vcc_lo
	v_mad_co_u64_u32 v[24:25], null, s8, v28, 0
	v_add_nc_u32_e32 v30, 0x152, v32
	s_clause 0x2
	global_store_b64 v[121:122], v[22:23], off
	global_store_b64 v[131:132], v[16:17], off
	;; [unrolled: 1-line block ×3, first 2 shown]
	v_mov_b32_e32 v62, v20
	v_mad_co_u64_u32 v[19:20], null, s8, v32, 0
	v_mov_b32_e32 v18, v25
	v_mad_co_u64_u32 v[21:22], null, s8, v30, 0
	v_lshlrev_b64_e32 v[16:17], 3, v[143:144]
	v_add_f32_e32 v15, v53, v75
	v_sub_f32_e32 v14, v77, v78
	v_mad_co_u64_u32 v[25:26], null, s9, v28, v[18:19]
	v_mov_b32_e32 v18, v20
	v_add_co_u32 v16, vcc_lo, v0, v16
	v_mov_b32_e32 v20, v22
	v_fma_f32 v3, v4, 2.0, -v13
	s_delay_alu instid0(VALU_DEP_4)
	v_mad_co_u64_u32 v[22:23], null, s9, v32, v[18:19]
	v_fma_f32 v5, v53, 2.0, -v15
	v_fma_f32 v4, v77, 2.0, -v14
	s_wait_alu 0xfffd
	v_add_co_ci_u32_e32 v17, vcc_lo, v1, v17, vcc_lo
	v_lshlrev_b64_e32 v[28:29], 3, v[61:62]
	v_add_nc_u32_e32 v23, 0x2a4, v32
	v_mad_co_u64_u32 v[30:31], null, s9, v30, v[20:21]
	global_store_b64 v[16:17], v[4:5], off
	v_mov_b32_e32 v20, v22
	v_mad_co_u64_u32 v[16:17], null, s8, v23, 0
	v_add_co_u32 v28, vcc_lo, v0, v28
	s_wait_alu 0xfffd
	v_add_co_ci_u32_e32 v29, vcc_lo, v1, v29, vcc_lo
	v_lshlrev_b64_e32 v[4:5], 3, v[24:25]
	v_mov_b32_e32 v22, v30
	v_mul_hi_u32 v24, 0x60f25deb, v55
	global_store_b64 v[28:29], v[6:7], off
	v_mov_b32_e32 v6, v17
	v_lshlrev_b64_e32 v[17:18], 3, v[19:20]
	v_add_co_u32 v4, vcc_lo, v0, v4
	v_lshlrev_b64_e32 v[19:20], 3, v[21:22]
	s_wait_alu 0xfffd
	v_add_co_ci_u32_e32 v5, vcc_lo, v1, v5, vcc_lo
	s_delay_alu instid0(VALU_DEP_4)
	v_add_co_u32 v21, vcc_lo, v0, v17
	v_lshrrev_b32_e32 v24, 7, v24
	s_wait_alu 0xfffd
	v_add_co_ci_u32_e32 v22, vcc_lo, v1, v18, vcc_lo
	v_add_co_u32 v18, vcc_lo, v0, v19
	v_mad_co_u64_u32 v[6:7], null, s9, v23, v[6:7]
	s_wait_alu 0xfffd
	v_add_co_ci_u32_e32 v19, vcc_lo, v1, v20, vcc_lo
	v_mad_u32_u24 v20, 0x3f6, v24, v55
	v_fma_f32 v10, v73, 2.0, -v71
	v_add_nc_u32_e32 v23, 0x3f6, v32
	s_clause 0x2
	global_store_b64 v[4:5], v[14:15], off
	global_store_b64 v[21:22], v[2:3], off
	;; [unrolled: 1-line block ×3, first 2 shown]
	v_add_nc_u32_e32 v21, 0x2a4, v20
	v_dual_mov_b32 v17, v6 :: v_dual_add_nc_u32 v18, 0x152, v20
	v_mad_co_u64_u32 v[6:7], null, s8, v23, 0
	v_mad_co_u64_u32 v[4:5], null, s8, v20, 0
	s_delay_alu instid0(VALU_DEP_3) | instskip(NEXT) | instid1(VALU_DEP_4)
	v_mad_co_u64_u32 v[10:11], null, s8, v18, 0
	v_lshlrev_b64_e32 v[2:3], 3, v[16:17]
	v_add_nc_u32_e32 v22, 0x3f6, v20
	v_mad_co_u64_u32 v[14:15], null, s9, v23, v[7:8]
	v_mad_co_u64_u32 v[15:16], null, s9, v20, v[5:6]
	v_mov_b32_e32 v5, v11
	v_mad_co_u64_u32 v[16:17], null, s8, v21, 0
	v_add_co_u32 v2, vcc_lo, v0, v2
	s_wait_alu 0xfffd
	v_add_co_ci_u32_e32 v3, vcc_lo, v1, v3, vcc_lo
	v_mad_co_u64_u32 v[18:19], null, s9, v18, v[5:6]
	v_mad_co_u64_u32 v[19:20], null, s8, v22, 0
	global_store_b64 v[2:3], v[12:13], off
	v_dual_mov_b32 v2, v17 :: v_dual_mov_b32 v5, v15
	v_mov_b32_e32 v7, v14
	v_mov_b32_e32 v11, v18
	s_delay_alu instid0(VALU_DEP_3) | instskip(NEXT) | instid1(VALU_DEP_4)
	v_mad_co_u64_u32 v[2:3], null, s9, v21, v[2:3]
	v_lshlrev_b64_e32 v[4:5], 3, v[4:5]
	v_mov_b32_e32 v3, v20
	v_lshlrev_b64_e32 v[6:7], 3, v[6:7]
	v_lshlrev_b64_e32 v[10:11], 3, v[10:11]
	s_delay_alu instid0(VALU_DEP_3) | instskip(NEXT) | instid1(VALU_DEP_3)
	v_mad_co_u64_u32 v[12:13], null, s9, v22, v[3:4]
	v_add_co_u32 v6, vcc_lo, v0, v6
	v_mov_b32_e32 v17, v2
	s_wait_alu 0xfffd
	v_add_co_ci_u32_e32 v7, vcc_lo, v1, v7, vcc_lo
	v_add_co_u32 v2, vcc_lo, v0, v4
	v_mov_b32_e32 v20, v12
	s_wait_alu 0xfffd
	v_add_co_ci_u32_e32 v3, vcc_lo, v1, v5, vcc_lo
	v_lshlrev_b64_e32 v[4:5], 3, v[16:17]
	v_add_co_u32 v10, vcc_lo, v0, v10
	v_lshlrev_b64_e32 v[12:13], 3, v[19:20]
	s_wait_alu 0xfffd
	v_add_co_ci_u32_e32 v11, vcc_lo, v1, v11, vcc_lo
	s_delay_alu instid0(VALU_DEP_4)
	v_add_co_u32 v4, vcc_lo, v0, v4
	s_wait_alu 0xfffd
	v_add_co_ci_u32_e32 v5, vcc_lo, v1, v5, vcc_lo
	v_add_co_u32 v12, vcc_lo, v0, v12
	s_wait_alu 0xfffd
	v_add_co_ci_u32_e32 v13, vcc_lo, v1, v13, vcc_lo
	s_clause 0x4
	global_store_b64 v[6:7], v[71:72], off
	global_store_b64 v[2:3], v[8:9], off
	;; [unrolled: 1-line block ×5, first 2 shown]
	s_and_b32 exec_lo, exec_lo, s0
	s_cbranch_execz .LBB0_20
; %bb.19:
	v_mul_i32_i24_e32 v26, 3, v41
	v_add_nc_u32_e32 v16, 0x138, v54
	v_add_nc_u32_e32 v18, 0x28a, v54
	;; [unrolled: 1-line block ×3, first 2 shown]
	s_delay_alu instid0(VALU_DEP_4) | instskip(NEXT) | instid1(VALU_DEP_4)
	v_lshlrev_b64_e32 v[2:3], 3, v[26:27]
	v_mad_co_u64_u32 v[8:9], null, s8, v16, 0
	s_delay_alu instid0(VALU_DEP_4) | instskip(NEXT) | instid1(VALU_DEP_4)
	v_mad_co_u64_u32 v[10:11], null, s8, v18, 0
	v_mad_co_u64_u32 v[14:15], null, s8, v20, 0
	s_delay_alu instid0(VALU_DEP_4) | instskip(SKIP_2) | instid1(VALU_DEP_4)
	v_add_co_u32 v6, vcc_lo, s4, v2
	s_wait_alu 0xfffd
	v_add_co_ci_u32_e32 v7, vcc_lo, s5, v3, vcc_lo
	v_mad_co_u64_u32 v[16:17], null, s9, v16, v[9:10]
	s_clause 0x1
	global_load_b128 v[2:5], v[6:7], off offset:2688
	global_load_b64 v[6:7], v[6:7], off offset:2704
	v_add_nc_u32_e32 v19, 0x3dc, v54
	v_mov_b32_e32 v9, v16
	s_delay_alu instid0(VALU_DEP_2) | instskip(NEXT) | instid1(VALU_DEP_2)
	v_mad_co_u64_u32 v[12:13], null, s8, v19, 0
	v_lshlrev_b64_e32 v[8:9], 3, v[8:9]
	s_delay_alu instid0(VALU_DEP_2) | instskip(NEXT) | instid1(VALU_DEP_3)
	v_mad_co_u64_u32 v[17:18], null, s9, v18, v[11:12]
	v_mad_co_u64_u32 v[18:19], null, s9, v19, v[13:14]
	s_delay_alu instid0(VALU_DEP_2) | instskip(NEXT) | instid1(VALU_DEP_2)
	v_mov_b32_e32 v11, v17
	v_mov_b32_e32 v13, v18
	v_mad_co_u64_u32 v[19:20], null, s9, v20, v[15:16]
	s_delay_alu instid0(VALU_DEP_3) | instskip(NEXT) | instid1(VALU_DEP_3)
	v_lshlrev_b64_e32 v[10:11], 3, v[10:11]
	v_lshlrev_b64_e32 v[12:13], 3, v[12:13]
	s_delay_alu instid0(VALU_DEP_3) | instskip(SKIP_4) | instid1(VALU_DEP_2)
	v_mov_b32_e32 v15, v19
	s_wait_loadcnt 0x1
	v_mul_f32_e32 v16, v47, v3
	s_wait_loadcnt 0x0
	v_mul_f32_e32 v18, v49, v7
	v_fma_f32 v16, v43, v2, -v16
	v_mul_f32_e32 v17, v43, v3
	v_mul_f32_e32 v3, v48, v5
	;; [unrolled: 1-line block ×3, first 2 shown]
	s_delay_alu instid0(VALU_DEP_2) | instskip(NEXT) | instid1(VALU_DEP_2)
	v_fma_f32 v19, v44, v4, -v3
	v_fmac_f32_e32 v5, v48, v4
	v_fma_f32 v4, v45, v6, -v18
	s_delay_alu instid0(VALU_DEP_1) | instskip(SKIP_3) | instid1(VALU_DEP_4)
	v_dual_sub_f32 v18, v16, v4 :: v_dual_fmac_f32 v17, v47, v2
	v_lshlrev_b64_e32 v[2:3], 3, v[14:15]
	v_sub_f32_e32 v14, v42, v19
	v_sub_f32_e32 v15, v46, v5
	v_fma_f32 v16, v16, 2.0, -v18
	v_add_co_u32 v4, vcc_lo, v0, v8
	s_delay_alu instid0(VALU_DEP_4)
	v_fma_f32 v20, v42, 2.0, -v14
	v_mul_f32_e32 v7, v45, v7
	v_fma_f32 v21, v46, 2.0, -v15
	s_wait_alu 0xfffd
	v_add_co_ci_u32_e32 v5, vcc_lo, v1, v9, vcc_lo
	v_add_f32_e32 v9, v15, v18
	v_fmac_f32_e32 v7, v49, v6
	v_add_co_u32 v6, vcc_lo, v0, v10
	v_sub_f32_e32 v10, v20, v16
	s_delay_alu instid0(VALU_DEP_4) | instskip(NEXT) | instid1(VALU_DEP_4)
	v_fma_f32 v15, v15, 2.0, -v9
	v_sub_f32_e32 v19, v17, v7
	s_wait_alu 0xfffd
	v_add_co_ci_u32_e32 v7, vcc_lo, v1, v11, vcc_lo
	v_add_co_u32 v12, vcc_lo, v0, v12
	s_delay_alu instid0(VALU_DEP_3)
	v_fma_f32 v17, v17, 2.0, -v19
	v_sub_f32_e32 v8, v14, v19
	s_wait_alu 0xfffd
	v_add_co_ci_u32_e32 v13, vcc_lo, v1, v13, vcc_lo
	v_fma_f32 v16, v20, 2.0, -v10
	v_sub_f32_e32 v11, v21, v17
	v_fma_f32 v14, v14, 2.0, -v8
	v_add_co_u32 v0, vcc_lo, v0, v2
	s_wait_alu 0xfffd
	v_add_co_ci_u32_e32 v1, vcc_lo, v1, v3, vcc_lo
	v_fma_f32 v17, v21, 2.0, -v11
	s_clause 0x3
	global_store_b64 v[4:5], v[16:17], off
	global_store_b64 v[6:7], v[14:15], off
	;; [unrolled: 1-line block ×4, first 2 shown]
.LBB0_20:
	s_nop 0
	s_sendmsg sendmsg(MSG_DEALLOC_VGPRS)
	s_endpgm
	.section	.rodata,"a",@progbits
	.p2align	6, 0x0
	.amdhsa_kernel fft_rtc_fwd_len1352_factors_2_13_13_4_wgs_52_tpt_52_halfLds_sp_ip_CI_sbrr_dirReg
		.amdhsa_group_segment_fixed_size 0
		.amdhsa_private_segment_fixed_size 0
		.amdhsa_kernarg_size 88
		.amdhsa_user_sgpr_count 2
		.amdhsa_user_sgpr_dispatch_ptr 0
		.amdhsa_user_sgpr_queue_ptr 0
		.amdhsa_user_sgpr_kernarg_segment_ptr 1
		.amdhsa_user_sgpr_dispatch_id 0
		.amdhsa_user_sgpr_private_segment_size 0
		.amdhsa_wavefront_size32 1
		.amdhsa_uses_dynamic_stack 0
		.amdhsa_enable_private_segment 0
		.amdhsa_system_sgpr_workgroup_id_x 1
		.amdhsa_system_sgpr_workgroup_id_y 0
		.amdhsa_system_sgpr_workgroup_id_z 0
		.amdhsa_system_sgpr_workgroup_info 0
		.amdhsa_system_vgpr_workitem_id 0
		.amdhsa_next_free_vgpr 147
		.amdhsa_next_free_sgpr 35
		.amdhsa_reserve_vcc 1
		.amdhsa_float_round_mode_32 0
		.amdhsa_float_round_mode_16_64 0
		.amdhsa_float_denorm_mode_32 3
		.amdhsa_float_denorm_mode_16_64 3
		.amdhsa_fp16_overflow 0
		.amdhsa_workgroup_processor_mode 1
		.amdhsa_memory_ordered 1
		.amdhsa_forward_progress 0
		.amdhsa_round_robin_scheduling 0
		.amdhsa_exception_fp_ieee_invalid_op 0
		.amdhsa_exception_fp_denorm_src 0
		.amdhsa_exception_fp_ieee_div_zero 0
		.amdhsa_exception_fp_ieee_overflow 0
		.amdhsa_exception_fp_ieee_underflow 0
		.amdhsa_exception_fp_ieee_inexact 0
		.amdhsa_exception_int_div_zero 0
	.end_amdhsa_kernel
	.text
.Lfunc_end0:
	.size	fft_rtc_fwd_len1352_factors_2_13_13_4_wgs_52_tpt_52_halfLds_sp_ip_CI_sbrr_dirReg, .Lfunc_end0-fft_rtc_fwd_len1352_factors_2_13_13_4_wgs_52_tpt_52_halfLds_sp_ip_CI_sbrr_dirReg
                                        ; -- End function
	.section	.AMDGPU.csdata,"",@progbits
; Kernel info:
; codeLenInByte = 22744
; NumSgprs: 37
; NumVgprs: 147
; ScratchSize: 0
; MemoryBound: 0
; FloatMode: 240
; IeeeMode: 1
; LDSByteSize: 0 bytes/workgroup (compile time only)
; SGPRBlocks: 4
; VGPRBlocks: 18
; NumSGPRsForWavesPerEU: 37
; NumVGPRsForWavesPerEU: 147
; Occupancy: 9
; WaveLimiterHint : 1
; COMPUTE_PGM_RSRC2:SCRATCH_EN: 0
; COMPUTE_PGM_RSRC2:USER_SGPR: 2
; COMPUTE_PGM_RSRC2:TRAP_HANDLER: 0
; COMPUTE_PGM_RSRC2:TGID_X_EN: 1
; COMPUTE_PGM_RSRC2:TGID_Y_EN: 0
; COMPUTE_PGM_RSRC2:TGID_Z_EN: 0
; COMPUTE_PGM_RSRC2:TIDIG_COMP_CNT: 0
	.text
	.p2alignl 7, 3214868480
	.fill 96, 4, 3214868480
	.type	__hip_cuid_681b93ead486c496,@object ; @__hip_cuid_681b93ead486c496
	.section	.bss,"aw",@nobits
	.globl	__hip_cuid_681b93ead486c496
__hip_cuid_681b93ead486c496:
	.byte	0                               ; 0x0
	.size	__hip_cuid_681b93ead486c496, 1

	.ident	"AMD clang version 19.0.0git (https://github.com/RadeonOpenCompute/llvm-project roc-6.4.0 25133 c7fe45cf4b819c5991fe208aaa96edf142730f1d)"
	.section	".note.GNU-stack","",@progbits
	.addrsig
	.addrsig_sym __hip_cuid_681b93ead486c496
	.amdgpu_metadata
---
amdhsa.kernels:
  - .args:
      - .actual_access:  read_only
        .address_space:  global
        .offset:         0
        .size:           8
        .value_kind:     global_buffer
      - .offset:         8
        .size:           8
        .value_kind:     by_value
      - .actual_access:  read_only
        .address_space:  global
        .offset:         16
        .size:           8
        .value_kind:     global_buffer
      - .actual_access:  read_only
        .address_space:  global
        .offset:         24
        .size:           8
        .value_kind:     global_buffer
      - .offset:         32
        .size:           8
        .value_kind:     by_value
      - .actual_access:  read_only
        .address_space:  global
        .offset:         40
        .size:           8
        .value_kind:     global_buffer
      - .actual_access:  read_only
        .address_space:  global
        .offset:         48
        .size:           8
        .value_kind:     global_buffer
      - .offset:         56
        .size:           4
        .value_kind:     by_value
      - .actual_access:  read_only
        .address_space:  global
        .offset:         64
        .size:           8
        .value_kind:     global_buffer
      - .actual_access:  read_only
        .address_space:  global
        .offset:         72
        .size:           8
        .value_kind:     global_buffer
      - .address_space:  global
        .offset:         80
        .size:           8
        .value_kind:     global_buffer
    .group_segment_fixed_size: 0
    .kernarg_segment_align: 8
    .kernarg_segment_size: 88
    .language:       OpenCL C
    .language_version:
      - 2
      - 0
    .max_flat_workgroup_size: 52
    .name:           fft_rtc_fwd_len1352_factors_2_13_13_4_wgs_52_tpt_52_halfLds_sp_ip_CI_sbrr_dirReg
    .private_segment_fixed_size: 0
    .sgpr_count:     37
    .sgpr_spill_count: 0
    .symbol:         fft_rtc_fwd_len1352_factors_2_13_13_4_wgs_52_tpt_52_halfLds_sp_ip_CI_sbrr_dirReg.kd
    .uniform_work_group_size: 1
    .uses_dynamic_stack: false
    .vgpr_count:     147
    .vgpr_spill_count: 0
    .wavefront_size: 32
    .workgroup_processor_mode: 1
amdhsa.target:   amdgcn-amd-amdhsa--gfx1201
amdhsa.version:
  - 1
  - 2
...

	.end_amdgpu_metadata
